;; amdgpu-corpus repo=ROCm/rocFFT kind=compiled arch=gfx1201 opt=O3
	.text
	.amdgcn_target "amdgcn-amd-amdhsa--gfx1201"
	.amdhsa_code_object_version 6
	.protected	fft_rtc_back_len150_factors_10_5_3_wgs_60_tpt_5_halfLds_dp_op_CI_CI_unitstride_sbrr_dirReg ; -- Begin function fft_rtc_back_len150_factors_10_5_3_wgs_60_tpt_5_halfLds_dp_op_CI_CI_unitstride_sbrr_dirReg
	.globl	fft_rtc_back_len150_factors_10_5_3_wgs_60_tpt_5_halfLds_dp_op_CI_CI_unitstride_sbrr_dirReg
	.p2align	8
	.type	fft_rtc_back_len150_factors_10_5_3_wgs_60_tpt_5_halfLds_dp_op_CI_CI_unitstride_sbrr_dirReg,@function
fft_rtc_back_len150_factors_10_5_3_wgs_60_tpt_5_halfLds_dp_op_CI_CI_unitstride_sbrr_dirReg: ; @fft_rtc_back_len150_factors_10_5_3_wgs_60_tpt_5_halfLds_dp_op_CI_CI_unitstride_sbrr_dirReg
; %bb.0:
	s_load_b128 s[8:11], s[0:1], 0x0
	v_mul_u32_u24_e32 v1, 0x3334, v0
	s_clause 0x1
	s_load_b128 s[4:7], s[0:1], 0x58
	s_load_b128 s[12:15], s[0:1], 0x18
	v_mov_b32_e32 v4, 0
	v_lshrrev_b32_e32 v2, 16, v1
	v_mov_b32_e32 v1, 0
	s_delay_alu instid0(VALU_DEP_2) | instskip(NEXT) | instid1(VALU_DEP_2)
	v_mad_co_u64_u32 v[120:121], null, ttmp9, 12, v[2:3]
	v_mov_b32_e32 v121, v1
	v_mov_b32_e32 v5, 0
	s_delay_alu instid0(VALU_DEP_2) | instskip(SKIP_2) | instid1(VALU_DEP_3)
	v_dual_mov_b32 v137, v121 :: v_dual_mov_b32 v136, v120
	s_wait_kmcnt 0x0
	v_cmp_lt_u64_e64 s2, s[10:11], 2
	v_dual_mov_b32 v149, v5 :: v_dual_mov_b32 v148, v4
	s_delay_alu instid0(VALU_DEP_2)
	s_and_b32 vcc_lo, exec_lo, s2
	s_cbranch_vccnz .LBB0_8
; %bb.1:
	s_load_b64 s[2:3], s[0:1], 0x10
	v_mov_b32_e32 v4, 0
	v_dual_mov_b32 v5, 0 :: v_dual_mov_b32 v6, v120
	v_mov_b32_e32 v7, v121
	s_add_nc_u64 s[16:17], s[14:15], 8
	s_add_nc_u64 s[18:19], s[12:13], 8
	s_delay_alu instid0(VALU_DEP_2)
	v_dual_mov_b32 v149, v5 :: v_dual_mov_b32 v148, v4
	s_mov_b64 s[20:21], 1
	s_wait_kmcnt 0x0
	s_add_nc_u64 s[22:23], s[2:3], 8
	s_mov_b32 s3, 0
.LBB0_2:                                ; =>This Inner Loop Header: Depth=1
	s_load_b64 s[24:25], s[22:23], 0x0
                                        ; implicit-def: $vgpr136_vgpr137
	s_mov_b32 s2, exec_lo
	s_wait_kmcnt 0x0
	v_or_b32_e32 v2, s25, v7
	s_delay_alu instid0(VALU_DEP_1)
	v_cmpx_ne_u64_e32 0, v[1:2]
	s_wait_alu 0xfffe
	s_xor_b32 s26, exec_lo, s2
	s_cbranch_execz .LBB0_4
; %bb.3:                                ;   in Loop: Header=BB0_2 Depth=1
	s_cvt_f32_u32 s2, s24
	s_cvt_f32_u32 s27, s25
	s_sub_nc_u64 s[30:31], 0, s[24:25]
	s_wait_alu 0xfffe
	s_delay_alu instid0(SALU_CYCLE_1) | instskip(SKIP_1) | instid1(SALU_CYCLE_2)
	s_fmamk_f32 s2, s27, 0x4f800000, s2
	s_wait_alu 0xfffe
	v_s_rcp_f32 s2, s2
	s_delay_alu instid0(TRANS32_DEP_1) | instskip(SKIP_1) | instid1(SALU_CYCLE_2)
	s_mul_f32 s2, s2, 0x5f7ffffc
	s_wait_alu 0xfffe
	s_mul_f32 s27, s2, 0x2f800000
	s_wait_alu 0xfffe
	s_delay_alu instid0(SALU_CYCLE_2) | instskip(SKIP_1) | instid1(SALU_CYCLE_2)
	s_trunc_f32 s27, s27
	s_wait_alu 0xfffe
	s_fmamk_f32 s2, s27, 0xcf800000, s2
	s_cvt_u32_f32 s29, s27
	s_wait_alu 0xfffe
	s_delay_alu instid0(SALU_CYCLE_1) | instskip(SKIP_1) | instid1(SALU_CYCLE_2)
	s_cvt_u32_f32 s28, s2
	s_wait_alu 0xfffe
	s_mul_u64 s[34:35], s[30:31], s[28:29]
	s_wait_alu 0xfffe
	s_mul_hi_u32 s37, s28, s35
	s_mul_i32 s36, s28, s35
	s_mul_hi_u32 s2, s28, s34
	s_mul_i32 s33, s29, s34
	s_wait_alu 0xfffe
	s_add_nc_u64 s[36:37], s[2:3], s[36:37]
	s_mul_hi_u32 s27, s29, s34
	s_mul_hi_u32 s38, s29, s35
	s_add_co_u32 s2, s36, s33
	s_wait_alu 0xfffe
	s_add_co_ci_u32 s2, s37, s27
	s_mul_i32 s34, s29, s35
	s_add_co_ci_u32 s35, s38, 0
	s_wait_alu 0xfffe
	s_add_nc_u64 s[34:35], s[2:3], s[34:35]
	s_wait_alu 0xfffe
	v_add_co_u32 v2, s2, s28, s34
	s_delay_alu instid0(VALU_DEP_1) | instskip(SKIP_1) | instid1(VALU_DEP_1)
	s_cmp_lg_u32 s2, 0
	s_add_co_ci_u32 s29, s29, s35
	v_readfirstlane_b32 s28, v2
	s_wait_alu 0xfffe
	s_delay_alu instid0(VALU_DEP_1)
	s_mul_u64 s[30:31], s[30:31], s[28:29]
	s_wait_alu 0xfffe
	s_mul_hi_u32 s35, s28, s31
	s_mul_i32 s34, s28, s31
	s_mul_hi_u32 s2, s28, s30
	s_mul_i32 s33, s29, s30
	s_wait_alu 0xfffe
	s_add_nc_u64 s[34:35], s[2:3], s[34:35]
	s_mul_hi_u32 s27, s29, s30
	s_mul_hi_u32 s28, s29, s31
	s_wait_alu 0xfffe
	s_add_co_u32 s2, s34, s33
	s_add_co_ci_u32 s2, s35, s27
	s_mul_i32 s30, s29, s31
	s_add_co_ci_u32 s31, s28, 0
	s_wait_alu 0xfffe
	s_add_nc_u64 s[30:31], s[2:3], s[30:31]
	s_wait_alu 0xfffe
	v_add_co_u32 v8, s2, v2, s30
	s_delay_alu instid0(VALU_DEP_1) | instskip(SKIP_1) | instid1(VALU_DEP_1)
	s_cmp_lg_u32 s2, 0
	s_add_co_ci_u32 s2, s29, s31
	v_mul_hi_u32 v12, v6, v8
	s_wait_alu 0xfffe
	v_mad_co_u64_u32 v[2:3], null, v6, s2, 0
	v_mad_co_u64_u32 v[8:9], null, v7, v8, 0
	;; [unrolled: 1-line block ×3, first 2 shown]
	s_delay_alu instid0(VALU_DEP_3) | instskip(SKIP_1) | instid1(VALU_DEP_4)
	v_add_co_u32 v2, vcc_lo, v12, v2
	s_wait_alu 0xfffd
	v_add_co_ci_u32_e32 v3, vcc_lo, 0, v3, vcc_lo
	s_delay_alu instid0(VALU_DEP_2) | instskip(SKIP_1) | instid1(VALU_DEP_2)
	v_add_co_u32 v2, vcc_lo, v2, v8
	s_wait_alu 0xfffd
	v_add_co_ci_u32_e32 v2, vcc_lo, v3, v9, vcc_lo
	s_wait_alu 0xfffd
	v_add_co_ci_u32_e32 v3, vcc_lo, 0, v11, vcc_lo
	s_delay_alu instid0(VALU_DEP_2) | instskip(SKIP_1) | instid1(VALU_DEP_2)
	v_add_co_u32 v8, vcc_lo, v2, v10
	s_wait_alu 0xfffd
	v_add_co_ci_u32_e32 v9, vcc_lo, 0, v3, vcc_lo
	s_delay_alu instid0(VALU_DEP_2) | instskip(SKIP_1) | instid1(VALU_DEP_3)
	v_mul_lo_u32 v10, s25, v8
	v_mad_co_u64_u32 v[2:3], null, s24, v8, 0
	v_mul_lo_u32 v11, s24, v9
	s_delay_alu instid0(VALU_DEP_2) | instskip(NEXT) | instid1(VALU_DEP_2)
	v_sub_co_u32 v2, vcc_lo, v6, v2
	v_add3_u32 v3, v3, v11, v10
	s_delay_alu instid0(VALU_DEP_1) | instskip(SKIP_1) | instid1(VALU_DEP_1)
	v_sub_nc_u32_e32 v10, v7, v3
	s_wait_alu 0xfffd
	v_subrev_co_ci_u32_e64 v10, s2, s25, v10, vcc_lo
	v_add_co_u32 v11, s2, v8, 2
	s_wait_alu 0xf1ff
	v_add_co_ci_u32_e64 v12, s2, 0, v9, s2
	v_sub_co_u32 v13, s2, v2, s24
	v_sub_co_ci_u32_e32 v3, vcc_lo, v7, v3, vcc_lo
	s_wait_alu 0xf1ff
	v_subrev_co_ci_u32_e64 v10, s2, 0, v10, s2
	s_delay_alu instid0(VALU_DEP_3) | instskip(NEXT) | instid1(VALU_DEP_3)
	v_cmp_le_u32_e32 vcc_lo, s24, v13
	v_cmp_eq_u32_e64 s2, s25, v3
	s_wait_alu 0xfffd
	v_cndmask_b32_e64 v13, 0, -1, vcc_lo
	v_cmp_le_u32_e32 vcc_lo, s25, v10
	s_wait_alu 0xfffd
	v_cndmask_b32_e64 v14, 0, -1, vcc_lo
	v_cmp_le_u32_e32 vcc_lo, s24, v2
	;; [unrolled: 3-line block ×3, first 2 shown]
	s_wait_alu 0xfffd
	v_cndmask_b32_e64 v15, 0, -1, vcc_lo
	v_cmp_eq_u32_e32 vcc_lo, s25, v10
	s_wait_alu 0xf1ff
	s_delay_alu instid0(VALU_DEP_2)
	v_cndmask_b32_e64 v2, v15, v2, s2
	s_wait_alu 0xfffd
	v_cndmask_b32_e32 v10, v14, v13, vcc_lo
	v_add_co_u32 v13, vcc_lo, v8, 1
	s_wait_alu 0xfffd
	v_add_co_ci_u32_e32 v14, vcc_lo, 0, v9, vcc_lo
	s_delay_alu instid0(VALU_DEP_3) | instskip(SKIP_1) | instid1(VALU_DEP_2)
	v_cmp_ne_u32_e32 vcc_lo, 0, v10
	s_wait_alu 0xfffd
	v_dual_cndmask_b32 v3, v14, v12 :: v_dual_cndmask_b32 v10, v13, v11
	v_cmp_ne_u32_e32 vcc_lo, 0, v2
	s_wait_alu 0xfffd
	s_delay_alu instid0(VALU_DEP_2)
	v_dual_cndmask_b32 v137, v9, v3 :: v_dual_cndmask_b32 v136, v8, v10
.LBB0_4:                                ;   in Loop: Header=BB0_2 Depth=1
	s_wait_alu 0xfffe
	s_and_not1_saveexec_b32 s2, s26
	s_cbranch_execz .LBB0_6
; %bb.5:                                ;   in Loop: Header=BB0_2 Depth=1
	v_cvt_f32_u32_e32 v2, s24
	s_sub_co_i32 s26, 0, s24
	v_mov_b32_e32 v137, v1
	s_delay_alu instid0(VALU_DEP_2) | instskip(NEXT) | instid1(TRANS32_DEP_1)
	v_rcp_iflag_f32_e32 v2, v2
	v_mul_f32_e32 v2, 0x4f7ffffe, v2
	s_delay_alu instid0(VALU_DEP_1) | instskip(SKIP_1) | instid1(VALU_DEP_1)
	v_cvt_u32_f32_e32 v2, v2
	s_wait_alu 0xfffe
	v_mul_lo_u32 v3, s26, v2
	s_delay_alu instid0(VALU_DEP_1) | instskip(NEXT) | instid1(VALU_DEP_1)
	v_mul_hi_u32 v3, v2, v3
	v_add_nc_u32_e32 v2, v2, v3
	s_delay_alu instid0(VALU_DEP_1) | instskip(NEXT) | instid1(VALU_DEP_1)
	v_mul_hi_u32 v2, v6, v2
	v_mul_lo_u32 v3, v2, s24
	v_add_nc_u32_e32 v8, 1, v2
	s_delay_alu instid0(VALU_DEP_2) | instskip(NEXT) | instid1(VALU_DEP_1)
	v_sub_nc_u32_e32 v3, v6, v3
	v_subrev_nc_u32_e32 v9, s24, v3
	v_cmp_le_u32_e32 vcc_lo, s24, v3
	s_wait_alu 0xfffd
	s_delay_alu instid0(VALU_DEP_2) | instskip(NEXT) | instid1(VALU_DEP_1)
	v_dual_cndmask_b32 v3, v3, v9 :: v_dual_cndmask_b32 v2, v2, v8
	v_cmp_le_u32_e32 vcc_lo, s24, v3
	s_delay_alu instid0(VALU_DEP_2) | instskip(SKIP_1) | instid1(VALU_DEP_1)
	v_add_nc_u32_e32 v8, 1, v2
	s_wait_alu 0xfffd
	v_cndmask_b32_e32 v136, v2, v8, vcc_lo
.LBB0_6:                                ;   in Loop: Header=BB0_2 Depth=1
	s_wait_alu 0xfffe
	s_or_b32 exec_lo, exec_lo, s2
	v_mul_lo_u32 v8, v137, s24
	s_delay_alu instid0(VALU_DEP_2)
	v_mul_lo_u32 v9, v136, s25
	s_load_b64 s[26:27], s[18:19], 0x0
	v_mad_co_u64_u32 v[2:3], null, v136, s24, 0
	s_load_b64 s[24:25], s[16:17], 0x0
	s_add_nc_u64 s[20:21], s[20:21], 1
	s_add_nc_u64 s[16:17], s[16:17], 8
	s_wait_alu 0xfffe
	v_cmp_ge_u64_e64 s2, s[20:21], s[10:11]
	s_add_nc_u64 s[18:19], s[18:19], 8
	s_add_nc_u64 s[22:23], s[22:23], 8
	v_add3_u32 v3, v3, v9, v8
	v_sub_co_u32 v2, vcc_lo, v6, v2
	s_wait_alu 0xfffd
	s_delay_alu instid0(VALU_DEP_2) | instskip(SKIP_2) | instid1(VALU_DEP_1)
	v_sub_co_ci_u32_e32 v3, vcc_lo, v7, v3, vcc_lo
	s_and_b32 vcc_lo, exec_lo, s2
	s_wait_kmcnt 0x0
	v_mul_lo_u32 v6, s26, v3
	v_mul_lo_u32 v7, s27, v2
	v_mad_co_u64_u32 v[4:5], null, s26, v2, v[4:5]
	v_mul_lo_u32 v3, s24, v3
	v_mul_lo_u32 v8, s25, v2
	v_mad_co_u64_u32 v[148:149], null, s24, v2, v[148:149]
	s_delay_alu instid0(VALU_DEP_4) | instskip(NEXT) | instid1(VALU_DEP_2)
	v_add3_u32 v5, v7, v5, v6
	v_add3_u32 v149, v8, v149, v3
	s_wait_alu 0xfffe
	s_cbranch_vccnz .LBB0_8
; %bb.7:                                ;   in Loop: Header=BB0_2 Depth=1
	v_dual_mov_b32 v6, v136 :: v_dual_mov_b32 v7, v137
	s_branch .LBB0_2
.LBB0_8:
	s_load_b64 s[0:1], s[0:1], 0x28
	v_mul_hi_u32 v1, 0x33333334, v0
	s_lshl_b64 s[10:11], s[10:11], 3
                                        ; implicit-def: $vgpr162
                                        ; implicit-def: $vgpr121
                                        ; implicit-def: $vgpr122
	s_wait_kmcnt 0x0
	v_cmp_gt_u64_e32 vcc_lo, s[0:1], v[136:137]
	v_cmp_le_u64_e64 s0, s[0:1], v[136:137]
	s_delay_alu instid0(VALU_DEP_1)
	s_and_saveexec_b32 s1, s0
	s_wait_alu 0xfffe
	s_xor_b32 s0, exec_lo, s1
; %bb.9:
	v_mul_u32_u24_e32 v1, 5, v1
                                        ; implicit-def: $vgpr4_vgpr5
	s_delay_alu instid0(VALU_DEP_1) | instskip(NEXT) | instid1(VALU_DEP_1)
	v_sub_nc_u32_e32 v162, v0, v1
                                        ; implicit-def: $vgpr1
                                        ; implicit-def: $vgpr0
	v_or_b32_e32 v121, 40, v162
	v_or_b32_e32 v122, 0x50, v162
; %bb.10:
	s_wait_alu 0xfffe
	s_or_saveexec_b32 s1, s0
	s_add_nc_u64 s[2:3], s[14:15], s[10:11]
                                        ; implicit-def: $vgpr6_vgpr7
                                        ; implicit-def: $vgpr2_vgpr3
                                        ; implicit-def: $vgpr14_vgpr15
                                        ; implicit-def: $vgpr10_vgpr11
                                        ; implicit-def: $vgpr34_vgpr35
                                        ; implicit-def: $vgpr22_vgpr23
                                        ; implicit-def: $vgpr42_vgpr43
                                        ; implicit-def: $vgpr18_vgpr19
                                        ; implicit-def: $vgpr38_vgpr39
                                        ; implicit-def: $vgpr26_vgpr27
                                        ; implicit-def: $vgpr30_vgpr31
                                        ; implicit-def: $vgpr46_vgpr47
                                        ; implicit-def: $vgpr54_vgpr55
                                        ; implicit-def: $vgpr74_vgpr75
                                        ; implicit-def: $vgpr70_vgpr71
                                        ; implicit-def: $vgpr78_vgpr79
                                        ; implicit-def: $vgpr62_vgpr63
                                        ; implicit-def: $vgpr82_vgpr83
                                        ; implicit-def: $vgpr66_vgpr67
                                        ; implicit-def: $vgpr86_vgpr87
                                        ; implicit-def: $vgpr58_vgpr59
                                        ; implicit-def: $vgpr50_vgpr51
                                        ; implicit-def: $vgpr106_vgpr107
                                        ; implicit-def: $vgpr90_vgpr91
                                        ; implicit-def: $vgpr110_vgpr111
                                        ; implicit-def: $vgpr114_vgpr115
                                        ; implicit-def: $vgpr102_vgpr103
                                        ; implicit-def: $vgpr118_vgpr119
                                        ; implicit-def: $vgpr94_vgpr95
                                        ; implicit-def: $vgpr98_vgpr99
	s_wait_alu 0xfffe
	s_xor_b32 exec_lo, exec_lo, s1
	s_cbranch_execz .LBB0_12
; %bb.11:
	s_add_nc_u64 s[10:11], s[12:13], s[10:11]
	s_load_b64 s[10:11], s[10:11], 0x0
	s_wait_kmcnt 0x0
	v_mul_lo_u32 v6, s11, v136
	v_mul_lo_u32 v7, s10, v137
	v_mad_co_u64_u32 v[2:3], null, s10, v136, 0
	s_delay_alu instid0(VALU_DEP_1) | instskip(SKIP_1) | instid1(VALU_DEP_2)
	v_add3_u32 v3, v3, v7, v6
	v_mul_u32_u24_e32 v6, 5, v1
	v_lshlrev_b64_e32 v[1:2], 4, v[2:3]
	v_lshlrev_b64_e32 v[3:4], 4, v[4:5]
	s_delay_alu instid0(VALU_DEP_3) | instskip(NEXT) | instid1(VALU_DEP_3)
	v_sub_nc_u32_e32 v162, v0, v6
	v_add_co_u32 v0, s0, s4, v1
	s_wait_alu 0xf1ff
	s_delay_alu instid0(VALU_DEP_4) | instskip(NEXT) | instid1(VALU_DEP_3)
	v_add_co_ci_u32_e64 v1, s0, s5, v2, s0
	v_lshlrev_b32_e32 v2, 4, v162
	s_delay_alu instid0(VALU_DEP_3) | instskip(SKIP_1) | instid1(VALU_DEP_3)
	v_add_co_u32 v0, s0, v0, v3
	s_wait_alu 0xf1ff
	v_add_co_ci_u32_e64 v1, s0, v1, v4, s0
	v_or_b32_e32 v122, 0x50, v162
	s_delay_alu instid0(VALU_DEP_3) | instskip(SKIP_1) | instid1(VALU_DEP_3)
	v_add_co_u32 v4, s0, v0, v2
	s_wait_alu 0xf1ff
	v_add_co_ci_u32_e64 v5, s0, 0, v1, s0
	v_or_b32_e32 v121, 40, v162
	s_clause 0x1d
	global_load_b128 v[96:99], v[4:5], off
	global_load_b128 v[84:87], v[4:5], off offset:80
	global_load_b128 v[116:119], v[4:5], off offset:480
	;; [unrolled: 1-line block ×29, first 2 shown]
.LBB0_12:
	s_or_b32 exec_lo, exec_lo, s1
	s_wait_loadcnt 0x1b
	v_add_f64_e32 v[123:124], v[116:117], v[96:97]
	s_wait_loadcnt 0xf
	v_add_f64_e32 v[129:130], v[102:103], v[94:95]
	v_add_f64_e32 v[125:126], v[118:119], v[98:99]
	;; [unrolled: 1-line block ×5, first 2 shown]
	s_wait_loadcnt 0x7
	v_add_f64_e32 v[158:159], v[106:107], v[110:111]
	s_wait_loadcnt 0x3
	v_add_f64_e32 v[160:161], v[58:59], v[102:103]
	v_add_f64_e32 v[138:139], v[88:89], v[112:113]
	;; [unrolled: 1-line block ×4, first 2 shown]
	v_add_f64_e64 v[150:151], v[116:117], -v[112:113]
	v_add_f64_e32 v[165:166], v[72:73], v[76:77]
	v_add_f64_e32 v[167:168], v[44:45], v[80:81]
	;; [unrolled: 1-line block ×3, first 2 shown]
	v_add_f64_e64 v[175:176], v[48:49], -v[88:89]
	v_add_f64_e32 v[131:132], v[80:81], v[84:85]
	v_add_f64_e64 v[146:147], v[118:119], -v[50:51]
	v_add_f64_e32 v[154:155], v[104:105], v[108:109]
	v_add_f64_e32 v[156:157], v[56:57], v[100:101]
	v_add_f64_e64 v[163:164], v[118:119], -v[114:115]
	v_add_f64_e32 v[169:170], v[74:75], v[78:79]
	v_add_f64_e64 v[118:119], v[114:115], -v[118:119]
	v_add_f64_e64 v[173:174], v[114:115], -v[90:91]
	;; [unrolled: 1-line block ×8, first 2 shown]
	s_mov_b32 s4, 0x134454ff
	s_mov_b32 s5, 0xbfee6f0e
	;; [unrolled: 1-line block ×3, first 2 shown]
	s_wait_alu 0xfffe
	s_mov_b32 s10, s4
	v_add_f64_e64 v[179:180], v[50:51], -v[90:91]
	v_add_f64_e64 v[181:182], v[90:91], -v[50:51]
	;; [unrolled: 1-line block ×4, first 2 shown]
	v_add_f64_e32 v[123:124], v[112:113], v[123:124]
	v_add_f64_e32 v[129:130], v[110:111], v[129:130]
	;; [unrolled: 1-line block ×5, first 2 shown]
	v_fma_f64 v[114:115], v[142:143], -0.5, v[98:99]
	v_add_f64_e64 v[142:143], v[100:101], -v[56:57]
	v_add_f64_e64 v[108:109], v[108:109], -v[104:105]
	v_fma_f64 v[158:159], v[158:159], -0.5, v[94:95]
	v_fma_f64 v[160:161], v[160:161], -0.5, v[94:95]
	v_add_f64_e64 v[112:113], v[112:113], -v[88:89]
	v_fma_f64 v[138:139], v[138:139], -0.5, v[96:97]
	v_fma_f64 v[140:141], v[140:141], -0.5, v[96:97]
	;; [unrolled: 1-line block ×6, first 2 shown]
	v_add_f64_e32 v[171:172], v[54:55], v[70:71]
	v_add_f64_e32 v[131:132], v[76:77], v[131:132]
	v_add_f64_e64 v[144:145], v[102:103], -v[110:111]
	v_fma_f64 v[154:155], v[154:155], -0.5, v[92:93]
	v_fma_f64 v[156:157], v[156:157], -0.5, v[92:93]
	v_add_f64_e64 v[197:198], v[106:107], -v[58:59]
	v_add_f64_e64 v[92:93], v[82:83], -v[46:47]
	v_fma_f64 v[94:95], v[169:170], -0.5, v[86:87]
	v_add_f64_e64 v[102:103], v[82:83], -v[78:79]
	v_add_f64_e64 v[195:196], v[58:59], -v[106:107]
	;; [unrolled: 1-line block ×6, first 2 shown]
	s_wait_loadcnt 0x1
	v_add_f64_e32 v[169:170], v[28:29], v[60:61]
	s_mov_b32 s14, 0x4755a5e
	s_mov_b32 s15, 0xbfe2cf23
	;; [unrolled: 1-line block ×4, first 2 shown]
	v_add_f64_e64 v[203:204], v[60:61], -v[28:29]
	v_add_f64_e64 v[199:200], v[70:71], -v[62:63]
	v_add_f64_e32 v[123:124], v[88:89], v[123:124]
	v_add_f64_e32 v[88:89], v[106:107], v[129:130]
	;; [unrolled: 1-line block ×5, first 2 shown]
	v_add_f64_e64 v[90:91], v[78:79], -v[82:83]
	v_add_f64_e32 v[82:83], v[74:75], v[133:134]
	v_add_f64_e32 v[133:134], v[191:192], v[187:188]
	s_wait_alu 0xfffe
	v_fma_f64 v[187:188], v[142:143], s[10:11], v[158:159]
	v_fma_f64 v[158:159], v[142:143], s[4:5], v[158:159]
	;; [unrolled: 1-line block ×4, first 2 shown]
	v_add_f64_e64 v[125:126], v[44:45], -v[72:73]
	v_add_f64_e64 v[106:107], v[72:73], -v[44:45]
	v_add_f64_e32 v[150:151], v[52:53], v[68:69]
	v_add_f64_e64 v[201:202], v[62:63], -v[30:31]
	s_mov_b32 s12, 0x372fe950
	v_fma_f64 v[171:172], v[171:172], -0.5, v[66:67]
	v_add_f64_e32 v[72:73], v[72:73], v[131:132]
	v_add_f64_e32 v[131:132], v[189:190], v[185:186]
	;; [unrolled: 1-line block ×3, first 2 shown]
	s_mov_b32 s13, 0x3fd3c6ef
	v_add_f64_e32 v[185:186], v[197:198], v[193:194]
	v_add_f64_e64 v[193:194], v[68:69], -v[60:61]
	v_add_f64_e64 v[197:198], v[62:63], -v[70:71]
	v_add_f64_e32 v[127:128], v[104:105], v[127:128]
	v_add_f64_e32 v[144:145], v[195:196], v[144:145]
	v_add_f64_e64 v[195:196], v[68:69], -v[52:53]
	v_add_f64_e64 v[104:105], v[46:47], -v[74:75]
	v_add_f64_e32 v[152:153], v[177:178], v[152:153]
	v_add_f64_e64 v[116:117], v[116:117], -v[48:49]
	v_fma_f64 v[169:170], v[169:170], -0.5, v[64:65]
	v_add_f64_e64 v[78:79], v[78:79], -v[74:75]
	v_add_f64_e64 v[74:75], v[74:75], -v[46:47]
	s_mov_b32 s0, 0x9b97f4a8
	s_mov_b32 s1, 0x3fe9e377
	;; [unrolled: 1-line block ×5, first 2 shown]
	s_wait_alu 0xfffe
	s_mov_b32 s18, s0
	v_add_f64_e64 v[80:81], v[80:81], -v[44:45]
	v_fma_f64 v[175:176], v[175:176], -0.5, v[66:67]
	v_add_f64_e32 v[66:67], v[62:63], v[66:67]
	v_fma_f64 v[62:63], v[183:184], s[10:11], v[154:155]
	v_add_f64_e32 v[48:49], v[48:49], v[123:124]
	v_add_f64_e32 v[163:164], v[179:180], v[163:164]
	v_fma_f64 v[187:188], v[108:109], s[16:17], v[187:188]
	v_fma_f64 v[108:109], v[108:109], s[14:15], v[158:159]
	v_fma_f64 v[158:159], v[142:143], s[16:17], v[191:192]
	v_fma_f64 v[142:143], v[142:143], s[14:15], v[160:161]
	v_add_f64_e64 v[160:161], v[60:61], -v[68:69]
	v_mul_hi_u32 v60, 0xaaaaaaab, v120
	v_fma_f64 v[150:151], v[150:151], -0.5, v[64:65]
	v_add_f64_e64 v[64:65], v[70:71], -v[54:55]
	v_add_f64_e32 v[125:126], v[125:126], v[165:166]
	v_fma_f64 v[179:180], v[112:113], s[4:5], v[96:97]
	v_fma_f64 v[96:97], v[112:113], s[10:11], v[96:97]
	v_add_f64_e32 v[118:119], v[181:182], v[118:119]
	v_add_f64_e32 v[189:190], v[68:69], v[189:190]
	v_lshrrev_b32_e32 v60, 3, v60
	v_add_f64_e64 v[177:178], v[52:53], -v[28:29]
	v_add_f64_e32 v[106:107], v[106:107], v[167:168]
	v_fma_f64 v[181:182], v[92:93], s[4:5], v[100:101]
	v_add_f64_e32 v[56:57], v[56:57], v[127:128]
	v_mul_lo_u32 v60, v60, 12
	v_add_f64_e32 v[82:83], v[46:47], v[82:83]
	v_add_f64_e32 v[102:103], v[104:105], v[102:103]
	;; [unrolled: 1-line block ×5, first 2 shown]
	v_fma_f64 v[100:101], v[92:93], s[10:11], v[100:101]
	v_add_f64_e32 v[165:166], v[74:75], v[90:91]
	s_wait_loadcnt 0x0
	v_add_f64_e32 v[74:75], v[6:7], v[42:43]
	s_load_b64 s[2:3], s[2:3], 0x0
	v_add_f64_e32 v[191:192], v[70:71], v[66:67]
	v_sub_nc_u32_e32 v66, v120, v60
	v_fma_f64 v[60:61], v[183:184], s[4:5], v[154:155]
	v_fma_f64 v[67:68], v[110:111], s[10:11], v[156:157]
	;; [unrolled: 1-line block ×10, first 2 shown]
	v_mul_u32_u24_e32 v66, 0x96, v66
	v_fma_f64 v[96:97], v[116:117], s[14:15], v[96:97]
	v_add_f64_e64 v[50:51], v[48:49], -v[56:57]
	v_fma_f64 v[104:105], v[104:105], -0.5, v[38:39]
	v_add_f64_e32 v[167:168], v[54:55], v[191:192]
	v_add_f64_e32 v[191:192], v[44:45], v[72:73]
	v_fma_f64 v[60:61], v[110:111], s[14:15], v[60:61]
	v_fma_f64 v[110:111], v[110:111], s[16:17], v[62:63]
	;; [unrolled: 1-line block ×13, first 2 shown]
	v_add_f64_e32 v[44:45], v[56:57], v[48:49]
	v_fma_f64 v[73:74], v[74:75], -0.5, v[38:39]
	v_fma_f64 v[175:176], v[203:204], s[14:15], v[175:176]
	v_fma_f64 v[185:186], v[76:77], s[16:17], v[185:186]
	;; [unrolled: 1-line block ×3, first 2 shown]
	v_add_f64_e32 v[38:39], v[42:43], v[38:39]
	v_mul_f64_e32 v[158:159], s[14:15], v[62:63]
	v_fma_f64 v[108:109], v[173:174], s[14:15], v[108:109]
	v_fma_f64 v[144:145], v[146:147], s[14:15], v[144:145]
	;; [unrolled: 1-line block ×5, first 2 shown]
	v_mul_f64_e32 v[110:111], s[14:15], v[156:157]
	v_fma_f64 v[138:139], v[173:174], s[16:17], v[138:139]
	v_fma_f64 v[131:132], v[133:134], s[12:13], v[67:68]
	v_mul_f64_e32 v[67:68], s[4:5], v[154:155]
	v_fma_f64 v[133:134], v[133:134], s[12:13], v[69:70]
	v_mul_f64_e32 v[69:70], s[4:5], v[142:143]
	v_add_f64_e64 v[173:174], v[28:29], -v[52:53]
	v_mul_f64_e32 v[142:143], s[20:21], v[142:143]
	v_mul_f64_e32 v[62:63], s[18:19], v[62:63]
	v_fma_f64 v[108:109], v[129:130], s[12:13], v[108:109]
	v_fma_f64 v[123:124], v[152:153], s[12:13], v[144:145]
	;; [unrolled: 1-line block ×3, first 2 shown]
	v_add_f64_e64 v[144:145], v[54:55], -v[30:31]
	v_fma_f64 v[140:141], v[60:61], s[18:19], v[158:159]
	v_fma_f64 v[110:111], v[146:147], s[0:1], v[110:111]
	;; [unrolled: 1-line block ×3, first 2 shown]
	v_add_f64_e64 v[138:139], v[30:31], -v[54:55]
	v_fma_f64 v[67:68], v[131:132], s[12:13], v[67:68]
	v_add_f64_e32 v[158:159], v[12:13], v[32:33]
	v_fma_f64 v[69:70], v[133:134], s[20:21], v[69:70]
	v_add_f64_e32 v[90:91], v[173:174], v[160:161]
	v_fma_f64 v[173:174], v[116:117], s[10:11], v[114:115]
	v_fma_f64 v[114:115], v[116:117], s[4:5], v[114:115]
	v_add_f64_e32 v[160:161], v[52:53], v[189:190]
	v_fma_f64 v[189:190], v[203:204], s[10:11], v[171:172]
	v_fma_f64 v[171:172], v[203:204], s[4:5], v[171:172]
	v_add_f64_e32 v[152:153], v[8:9], v[20:21]
	v_mul_f64_e32 v[146:147], s[16:17], v[146:147]
	v_mul_f64_e32 v[131:132], s[10:11], v[131:132]
	v_fma_f64 v[133:134], v[133:134], s[10:11], v[142:143]
	v_fma_f64 v[60:61], v[60:61], s[16:17], v[62:63]
	v_add_f64_e32 v[144:145], v[144:145], v[199:200]
	v_add_f64_e32 v[46:47], v[108:109], v[110:111]
	v_add_f64_e64 v[52:53], v[108:109], -v[110:111]
	v_add_f64_e64 v[108:109], v[40:41], -v[4:5]
	;; [unrolled: 1-line block ×3, first 2 shown]
	v_add_f64_e32 v[56:57], v[123:124], v[67:68]
	v_add_f64_e32 v[58:59], v[127:128], v[69:70]
	;; [unrolled: 1-line block ×3, first 2 shown]
	v_add_f64_e64 v[67:68], v[127:128], -v[69:70]
	v_add_f64_e64 v[69:70], v[129:130], -v[140:141]
	v_add_f64_e32 v[129:130], v[138:139], v[197:198]
	v_fma_f64 v[138:139], v[201:202], s[4:5], v[150:151]
	v_fma_f64 v[140:141], v[201:202], s[10:11], v[150:151]
	v_add_f64_e32 v[150:151], v[4:5], v[40:41]
	v_fma_f64 v[123:124], v[64:65], s[10:11], v[169:170]
	v_fma_f64 v[127:128], v[64:65], s[4:5], v[169:170]
	;; [unrolled: 1-line block ×5, first 2 shown]
	v_add_f64_e64 v[116:117], v[32:33], -v[12:13]
	v_add_f64_e32 v[110:111], v[177:178], v[193:194]
	v_fma_f64 v[177:178], v[78:79], s[14:15], v[181:182]
	v_fma_f64 v[179:180], v[92:93], s[14:15], v[183:184]
	;; [unrolled: 1-line block ×3, first 2 shown]
	v_add_f64_e64 v[98:99], v[42:43], -v[6:7]
	v_fma_f64 v[181:182], v[195:196], s[16:17], v[189:190]
	v_fma_f64 v[183:184], v[203:204], s[16:17], v[187:188]
	;; [unrolled: 1-line block ×6, first 2 shown]
	v_fma_f64 v[84:85], v[158:159], -0.5, v[36:37]
	v_add_f64_e64 v[187:188], v[42:43], -v[34:35]
	v_add_f64_e64 v[189:190], v[34:35], -v[42:43]
	v_add_f64_e64 v[75:76], v[34:35], -v[14:15]
	v_add_f64_e64 v[71:72], v[6:7], -v[14:15]
	v_add_f64_e64 v[114:115], v[18:19], -v[2:3]
	v_fma_f64 v[78:79], v[78:79], s[16:17], v[100:101]
	v_add_f64_e32 v[100:101], v[0:1], v[16:17]
	v_fma_f64 v[152:153], v[152:153], -0.5, v[24:25]
	v_fma_f64 v[146:147], v[156:157], s[0:1], v[146:147]
	v_fma_f64 v[158:159], v[108:109], s[10:11], v[104:105]
	v_fma_f64 v[104:105], v[108:109], s[4:5], v[104:105]
	v_fma_f64 v[131:132], v[154:155], s[12:13], v[131:132]
	v_add_f64_e64 v[154:155], v[16:17], -v[20:21]
	v_add_f64_e64 v[42:43], v[40:41], -v[32:33]
	v_add_f64_e32 v[34:35], v[34:35], v[38:39]
	v_add_f64_e64 v[38:39], v[2:3], -v[10:11]
	v_add_f64_e32 v[28:29], v[28:29], v[160:161]
	v_fma_f64 v[138:139], v[64:65], s[14:15], v[138:139]
	v_fma_f64 v[64:65], v[64:65], s[16:17], v[140:141]
	v_add_f64_e64 v[140:141], v[14:15], -v[6:7]
	v_fma_f64 v[150:151], v[150:151], -0.5, v[36:37]
	v_fma_f64 v[123:124], v[201:202], s[14:15], v[123:124]
	v_fma_f64 v[169:170], v[163:164], s[12:13], v[169:170]
	;; [unrolled: 1-line block ×7, first 2 shown]
	v_add_f64_e32 v[36:37], v[40:41], v[36:37]
	v_add_f64_e64 v[40:41], v[32:33], -v[40:41]
	v_fma_f64 v[127:128], v[201:202], s[16:17], v[127:128]
	v_fma_f64 v[156:157], v[129:130], s[12:13], v[181:182]
	;; [unrolled: 1-line block ×3, first 2 shown]
	v_add_f64_e64 v[181:182], v[0:1], -v[8:9]
	v_fma_f64 v[144:145], v[144:145], s[12:13], v[175:176]
	v_fma_f64 v[129:130], v[129:130], s[12:13], v[171:172]
	v_add_f64_e32 v[171:172], v[10:11], v[22:23]
	v_add_f64_e32 v[175:176], v[2:3], v[18:19]
	v_add_f64_e64 v[183:184], v[4:5], -v[12:13]
	v_add_f64_e32 v[160:161], v[30:31], v[167:168]
	v_fma_f64 v[62:63], v[106:107], s[12:13], v[179:180]
	v_add_f64_e32 v[71:72], v[71:72], v[187:188]
	v_add_f64_e64 v[187:188], v[12:13], -v[4:5]
	v_fma_f64 v[125:126], v[125:126], s[12:13], v[78:79]
	v_add_f64_e64 v[77:78], v[22:23], -v[10:11]
	v_fma_f64 v[142:143], v[114:115], s[4:5], v[152:153]
	v_fma_f64 v[152:153], v[114:115], s[10:11], v[152:153]
	;; [unrolled: 1-line block ×5, first 2 shown]
	v_fma_f64 v[100:101], v[100:101], -0.5, v[24:25]
	v_add_f64_e32 v[24:25], v[16:17], v[24:25]
	v_fma_f64 v[84:85], v[98:99], s[10:11], v[84:85]
	v_add_f64_e32 v[14:15], v[14:15], v[34:35]
	v_fma_f64 v[106:107], v[106:107], s[12:13], v[92:93]
	v_fma_f64 v[138:139], v[90:91], s[12:13], v[138:139]
	;; [unrolled: 1-line block ×3, first 2 shown]
	v_add_f64_e32 v[140:141], v[140:141], v[189:190]
	v_fma_f64 v[189:190], v[75:76], s[10:11], v[150:151]
	v_fma_f64 v[123:124], v[110:111], s[12:13], v[123:124]
	;; [unrolled: 1-line block ×3, first 2 shown]
	v_add_f64_e64 v[93:94], v[96:97], -v[133:134]
	v_fma_f64 v[80:81], v[165:166], s[12:13], v[80:81]
	v_fma_f64 v[173:174], v[108:109], s[16:17], v[173:174]
	;; [unrolled: 1-line block ×5, first 2 shown]
	v_add_f64_e32 v[150:151], v[181:182], v[154:155]
	v_add_f64_e32 v[154:155], v[18:19], v[26:27]
	v_add_f64_e64 v[181:182], v[20:21], -v[8:9]
	v_fma_f64 v[171:172], v[171:172], -0.5, v[26:27]
	v_fma_f64 v[26:27], v[175:176], -0.5, v[26:27]
	v_add_f64_e64 v[175:176], v[20:21], -v[16:17]
	v_add_f64_e64 v[16:17], v[16:17], -v[0:1]
	v_add_f64_e32 v[42:43], v[183:184], v[42:43]
	v_mul_f64_e32 v[90:91], s[4:5], v[144:145]
	v_add_f64_e32 v[40:41], v[187:188], v[40:41]
	v_fma_f64 v[142:143], v[77:78], s[14:15], v[142:143]
	v_fma_f64 v[152:153], v[77:78], s[16:17], v[152:153]
	;; [unrolled: 1-line block ×7, first 2 shown]
	v_add_f64_e64 v[100:101], v[8:9], -v[0:1]
	v_add_f64_e32 v[20:21], v[20:21], v[24:25]
	v_add_f64_e32 v[24:25], v[32:33], v[36:37]
	v_fma_f64 v[75:76], v[75:76], s[16:17], v[84:85]
	v_add_f64_e64 v[104:105], v[18:19], -v[22:23]
	v_add_f64_e64 v[18:19], v[22:23], -v[18:19]
	v_fma_f64 v[187:188], v[98:99], s[14:15], v[189:190]
	v_mul_f64_e32 v[36:37], s[4:5], v[177:178]
	v_mul_f64_e32 v[84:85], s[14:15], v[156:157]
	v_fma_f64 v[173:174], v[140:141], s[12:13], v[173:174]
	v_fma_f64 v[73:74], v[140:141], s[12:13], v[73:74]
	;; [unrolled: 1-line block ×3, first 2 shown]
	v_mul_f64_e32 v[98:99], s[16:17], v[138:139]
	v_mul_f64_e32 v[108:109], s[10:11], v[123:124]
	v_add_f64_e32 v[22:23], v[22:23], v[154:155]
	v_fma_f64 v[189:190], v[181:182], s[4:5], v[26:27]
	v_fma_f64 v[26:27], v[181:182], s[10:11], v[26:27]
	;; [unrolled: 1-line block ×4, first 2 shown]
	v_add_f64_e64 v[171:172], v[10:11], -v[2:3]
	v_fma_f64 v[116:117], v[42:43], s[12:13], v[116:117]
	v_fma_f64 v[127:128], v[114:115], s[14:15], v[183:184]
	;; [unrolled: 1-line block ×3, first 2 shown]
	v_mul_f64_e32 v[114:115], s[14:15], v[129:130]
	v_add_f64_e32 v[100:101], v[100:101], v[175:176]
	v_mul_f64_e32 v[175:176], s[14:15], v[158:159]
	v_add_f64_e32 v[8:9], v[8:9], v[20:21]
	v_add_f64_e32 v[12:13], v[12:13], v[24:25]
	v_mul_f64_e32 v[129:130], s[18:19], v[129:130]
	v_fma_f64 v[187:188], v[40:41], s[12:13], v[187:188]
	v_fma_f64 v[36:37], v[123:124], s[12:13], v[36:37]
	;; [unrolled: 1-line block ×5, first 2 shown]
	v_mul_f64_e32 v[183:184], s[4:5], v[173:174]
	v_mul_f64_e32 v[30:31], s[4:5], v[73:74]
	v_fma_f64 v[24:25], v[40:41], s[12:13], v[32:33]
	v_fma_f64 v[32:33], v[42:43], s[12:13], v[75:76]
	v_mul_f64_e32 v[40:41], s[14:15], v[71:72]
	v_fma_f64 v[42:43], v[156:157], s[0:1], v[98:99]
	v_mul_f64_e32 v[98:99], s[20:21], v[144:145]
	v_fma_f64 v[123:124], v[177:178], s[12:13], v[108:109]
	v_fma_f64 v[108:109], v[150:151], s[12:13], v[142:143]
	v_add_f64_e32 v[10:11], v[10:11], v[22:23]
	v_add_f64_e32 v[22:23], v[38:39], v[104:105]
	v_mul_f64_e32 v[142:143], s[20:21], v[73:74]
	v_mul_f64_e32 v[144:145], s[18:19], v[71:72]
	v_add_f64_e32 v[72:73], v[88:89], v[86:87]
	v_fma_f64 v[34:35], v[181:182], s[16:17], v[140:141]
	v_fma_f64 v[140:141], v[16:17], s[16:17], v[189:190]
	v_add_f64_e32 v[18:19], v[171:172], v[18:19]
	v_fma_f64 v[16:17], v[16:17], s[14:15], v[26:27]
	v_fma_f64 v[38:39], v[181:182], s[14:15], v[154:155]
	;; [unrolled: 1-line block ×3, first 2 shown]
	v_add_f64_e32 v[74:75], v[169:170], v[146:147]
	v_add_f64_e32 v[91:92], v[96:97], v[133:134]
	v_add_f64_e64 v[95:96], v[112:113], -v[60:61]
	v_fma_f64 v[133:134], v[102:103], s[12:13], v[193:194]
	v_mul_f64_e32 v[104:105], s[16:17], v[116:117]
	v_add_nc_u32_e32 v84, 5, v162
	v_fma_f64 v[114:115], v[64:65], s[18:19], v[114:115]
	v_fma_f64 v[150:151], v[100:101], s[12:13], v[77:78]
	;; [unrolled: 1-line block ×3, first 2 shown]
	v_add_f64_e64 v[78:79], v[86:87], -v[88:89]
	v_add_f64_e64 v[85:86], v[169:170], -v[146:147]
	v_add_f64_e32 v[146:147], v[0:1], v[8:9]
	v_mul_f64_e32 v[26:27], s[10:11], v[187:188]
	v_add_f64_e32 v[169:170], v[4:5], v[12:13]
	v_fma_f64 v[127:128], v[100:101], s[12:13], v[127:128]
	v_add_f64_e64 v[87:88], v[163:164], -v[131:132]
	v_add_f64_e32 v[89:90], v[163:164], v[131:132]
	v_fma_f64 v[156:157], v[187:188], s[12:13], v[183:184]
	v_add_f64_e32 v[76:77], v[112:113], v[60:61]
	v_fma_f64 v[131:132], v[24:25], s[20:21], v[30:31]
	v_fma_f64 v[64:65], v[64:65], s[16:17], v[129:130]
	;; [unrolled: 1-line block ×3, first 2 shown]
	v_add_f64_e32 v[129:130], v[6:7], v[14:15]
	v_fma_f64 v[163:164], v[110:111], s[10:11], v[98:99]
	v_add_f64_e32 v[0:1], v[28:29], v[191:192]
	v_add_f64_e32 v[4:5], v[62:63], v[36:37]
	;; [unrolled: 1-line block ×4, first 2 shown]
	v_fma_f64 v[142:143], v[24:25], s[10:11], v[142:143]
	v_fma_f64 v[144:145], v[32:33], s[16:17], v[144:145]
	v_add_f64_e64 v[10:11], v[191:192], -v[28:29]
	v_fma_f64 v[165:166], v[22:23], s[12:13], v[34:35]
	v_add_f64_e64 v[12:13], v[118:119], -v[20:21]
	v_fma_f64 v[140:141], v[18:19], s[12:13], v[140:141]
	v_fma_f64 v[175:176], v[18:19], s[12:13], v[16:17]
	;; [unrolled: 1-line block ×3, first 2 shown]
	v_add_f64_e32 v[6:7], v[106:107], v[154:155]
	v_add_f64_e64 v[14:15], v[62:63], -v[36:37]
	v_add_f64_e64 v[16:17], v[106:107], -v[154:155]
	v_add_f64_e32 v[97:98], v[160:161], v[82:83]
	v_add_f64_e32 v[99:100], v[152:153], v[42:43]
	v_fma_f64 v[158:159], v[158:159], s[0:1], v[104:105]
	v_add_f64_e32 v[101:102], v[167:168], v[123:124]
	v_add_f64_e64 v[111:112], v[167:168], -v[123:124]
	v_add_f64_e32 v[8:9], v[125:126], v[114:115]
	v_add_f64_e64 v[18:19], v[125:126], -v[114:115]
	;; [unrolled: 2-line block ×3, first 2 shown]
	v_add_f64_e64 v[107:108], v[82:83], -v[160:161]
	v_add_f64_e64 v[109:110], v[152:153], -v[42:43]
	v_fma_f64 v[173:174], v[173:174], s[12:13], v[26:27]
	v_add_f64_e32 v[20:21], v[169:170], v[146:147]
	v_add_f64_e64 v[30:31], v[146:147], -v[169:170]
	v_add_nc_u32_e32 v82, 25, v162
	v_add_f64_e32 v[24:25], v[127:128], v[156:157]
	v_add_f64_e64 v[34:35], v[127:128], -v[156:157]
	v_add_f64_e32 v[26:27], v[150:151], v[131:132]
	v_add_f64_e64 v[36:37], v[150:151], -v[131:132]
	v_add_f64_e32 v[28:29], v[138:139], v[40:41]
	v_add_f64_e64 v[38:39], v[138:139], -v[40:41]
	v_add_f64_e32 v[103:104], v[80:81], v[163:164]
	v_add_f64_e32 v[105:106], v[133:134], v[64:65]
	v_add_f64_e64 v[113:114], v[80:81], -v[163:164]
	v_add_f64_e32 v[117:118], v[129:130], v[60:61]
	v_add_f64_e64 v[129:130], v[60:61], -v[129:130]
	v_add_f64_e64 v[115:116], v[133:134], -v[64:65]
	v_dual_mov_b32 v151, 0 :: v_dual_lshlrev_b32 v40, 3, v66
	v_mul_u32_u24_e32 v41, 10, v162
	v_lshlrev_b32_e32 v150, 2, v162
	v_add_f64_e32 v[125:126], v[175:176], v[142:143]
	v_add_f64_e32 v[127:128], v[171:172], v[144:145]
	v_add_f64_e64 v[138:139], v[175:176], -v[142:143]
	v_add_nc_u32_e32 v81, 0, v40
	v_add_f64_e32 v[119:120], v[165:166], v[158:159]
	v_add_f64_e64 v[131:132], v[165:166], -v[158:159]
	s_delay_alu instid0(VALU_DEP_3)
	v_lshl_add_u32 v80, v41, 3, v81
	ds_store_b128 v80, v[44:47]
	ds_store_b128 v80, v[56:59] offset:16
	ds_store_b128 v80, v[48:51] offset:32
	;; [unrolled: 1-line block ×3, first 2 shown]
	v_lshlrev_b64_e32 v[44:45], 4, v[150:151]
	v_add_f64_e32 v[123:124], v[140:141], v[173:174]
	v_add_f64_e64 v[133:134], v[140:141], -v[173:174]
	v_add_f64_e64 v[140:141], v[171:172], -v[144:145]
	v_lshlrev_b32_e32 v150, 2, v84
	ds_store_b128 v80, v[67:70] offset:64
	ds_store_b128 v80, v[0:3] offset:400
	;; [unrolled: 1-line block ×8, first 2 shown]
	v_lshlrev_b32_e32 v0, 3, v162
	v_lshl_add_u32 v163, v121, 3, v81
	ds_store_b128 v80, v[28:31] offset:832
	ds_store_b128 v80, v[32:35] offset:848
	ds_store_b128 v80, v[36:39] offset:864
	v_lshlrev_b64_e32 v[46:47], 4, v[150:151]
	v_add3_u32 v164, 0, v0, v40
	v_add_nc_u32_e32 v165, v81, v0
	global_wb scope:SCOPE_SE
	s_wait_dscnt 0x0
	s_wait_kmcnt 0x0
	s_barrier_signal -1
	s_barrier_wait -1
	v_add_co_u32 v46, s0, s8, v46
	s_wait_alu 0xf1ff
	v_add_co_ci_u32_e64 v47, s0, s9, v47, s0
	global_inv scope:SCOPE_SE
	ds_load_2addr_b64 v[0:3], v164 offset0:25 offset1:30
	ds_load_2addr_b64 v[36:39], v164 offset0:60 offset1:65
	;; [unrolled: 1-line block ×6, first 2 shown]
	ds_load_b64 v[68:69], v165
	ds_load_b64 v[70:71], v163
	ds_load_2addr_b64 v[60:63], v164 offset0:70 offset1:75
	ds_load_2addr_b64 v[40:43], v164 offset0:100 offset1:105
	;; [unrolled: 1-line block ×8, first 2 shown]
	global_wb scope:SCOPE_SE
	s_wait_dscnt 0x0
	s_barrier_signal -1
	s_barrier_wait -1
	global_inv scope:SCOPE_SE
	ds_store_b128 v80, v[72:75]
	ds_store_b128 v80, v[89:92] offset:16
	ds_store_b128 v80, v[76:79] offset:32
	;; [unrolled: 1-line block ×5, first 2 shown]
	v_add_co_u32 v76, s0, s8, v44
	s_wait_alu 0xf1ff
	v_add_co_ci_u32_e64 v77, s0, s9, v45, s0
	ds_store_b128 v80, v[101:104] offset:416
	ds_store_b128 v80, v[105:108] offset:432
	;; [unrolled: 1-line block ×9, first 2 shown]
	global_wb scope:SCOPE_SE
	s_wait_dscnt 0x0
	s_barrier_signal -1
	s_barrier_wait -1
	global_inv scope:SCOPE_SE
	s_clause 0x4
	global_load_b128 v[72:75], v[46:47], off
	global_load_b128 v[86:89], v[76:77], off offset:16
	global_load_b128 v[90:93], v[46:47], off offset:16
	;; [unrolled: 1-line block ×4, first 2 shown]
	v_add_nc_u32_e32 v80, 20, v162
	s_clause 0x2
	global_load_b128 v[48:51], v[76:77], off offset:48
	global_load_b128 v[44:47], v[46:47], off offset:48
	global_load_b128 v[98:101], v[76:77], off
	v_and_b32_e32 v77, 0xff, v82
	v_and_b32_e32 v78, 0xff, v80
	s_delay_alu instid0(VALU_DEP_2) | instskip(NEXT) | instid1(VALU_DEP_2)
	v_mul_lo_u16 v77, 0xcd, v77
	v_mul_lo_u16 v78, 0xcd, v78
	s_delay_alu instid0(VALU_DEP_2) | instskip(NEXT) | instid1(VALU_DEP_2)
	v_lshrrev_b16 v77, 11, v77
	v_lshrrev_b16 v76, 11, v78
	s_delay_alu instid0(VALU_DEP_1) | instskip(NEXT) | instid1(VALU_DEP_1)
	v_mul_lo_u16 v76, v76, 10
	v_sub_nc_u16 v76, v80, v76
	s_delay_alu instid0(VALU_DEP_1) | instskip(SKIP_1) | instid1(VALU_DEP_2)
	v_and_b32_e32 v85, 0xff, v76
	v_mul_lo_u16 v76, v77, 10
	v_lshlrev_b32_e32 v77, 6, v85
	s_delay_alu instid0(VALU_DEP_2) | instskip(SKIP_2) | instid1(VALU_DEP_1)
	v_sub_nc_u16 v76, v82, v76
	global_load_b128 v[102:105], v77, s[8:9]
	v_and_b32_e32 v83, 0xff, v76
	v_lshlrev_b32_e32 v76, 6, v83
	s_clause 0x6
	global_load_b128 v[106:109], v76, s[8:9]
	global_load_b128 v[110:113], v77, s[8:9] offset:16
	global_load_b128 v[114:117], v76, s[8:9] offset:16
	;; [unrolled: 1-line block ×6, first 2 shown]
	ds_load_2addr_b64 v[142:145], v164 offset0:35 offset1:45
	ds_load_2addr_b64 v[152:155], v164 offset0:60 offset1:65
	;; [unrolled: 1-line block ×6, first 2 shown]
	s_wait_loadcnt_dscnt 0xe04
	v_mul_f64_e32 v[146:147], v[152:153], v[88:89]
	s_wait_loadcnt 0xd
	v_mul_f64_e32 v[160:161], v[154:155], v[92:93]
	v_mul_f64_e32 v[76:77], v[142:143], v[74:75]
	v_mul_f64_e32 v[78:79], v[144:145], v[74:75]
	v_mul_f64_e32 v[118:119], v[64:65], v[74:75]
	v_mul_f64_e32 v[74:75], v[66:67], v[74:75]
	v_mul_f64_e32 v[178:179], v[36:37], v[88:89]
	v_mul_f64_e32 v[180:181], v[38:39], v[92:93]
	s_wait_dscnt 0x3
	v_mul_f64_e32 v[182:183], v[156:157], v[88:89]
	v_mul_f64_e32 v[88:89], v[60:61], v[88:89]
	;; [unrolled: 1-line block ×4, first 2 shown]
	s_wait_loadcnt_dscnt 0xc02
	v_mul_f64_e32 v[186:187], v[166:167], v[96:97]
	s_wait_loadcnt 0xb
	v_mul_f64_e32 v[188:189], v[168:169], v[54:55]
	v_mul_f64_e32 v[190:191], v[56:57], v[96:97]
	;; [unrolled: 1-line block ×3, first 2 shown]
	s_wait_dscnt 0x1
	v_mul_f64_e32 v[194:195], v[170:171], v[96:97]
	v_mul_f64_e32 v[96:97], v[40:41], v[96:97]
	;; [unrolled: 1-line block ×3, first 2 shown]
	v_fma_f64 v[146:147], v[36:37], v[86:87], v[146:147]
	v_fma_f64 v[76:77], v[64:65], v[72:73], v[76:77]
	;; [unrolled: 1-line block ×3, first 2 shown]
	v_fma_f64 v[118:119], v[142:143], v[72:73], -v[118:119]
	v_fma_f64 v[64:65], v[144:145], v[72:73], -v[74:75]
	ds_load_2addr_b64 v[142:145], v164 offset0:120 offset1:125
	v_fma_f64 v[78:79], v[38:39], v[90:91], v[160:161]
	ds_load_2addr_b64 v[36:39], v164 offset0:25 offset1:30
	v_fma_f64 v[154:155], v[154:155], v[90:91], -v[180:181]
	v_mul_f64_e32 v[160:161], v[42:43], v[54:55]
	v_fma_f64 v[72:73], v[60:61], v[86:87], v[182:183]
	v_fma_f64 v[74:75], v[156:157], v[86:87], -v[88:89]
	v_fma_f64 v[60:61], v[62:63], v[90:91], v[184:185]
	v_fma_f64 v[54:55], v[158:159], v[90:91], -v[92:93]
	s_wait_loadcnt 0xa
	v_mul_f64_e32 v[88:89], v[32:33], v[50:51]
	s_wait_loadcnt 0x9
	v_mul_f64_e32 v[90:91], v[34:35], v[46:47]
	v_fma_f64 v[152:153], v[152:153], v[86:87], -v[178:179]
	ds_load_b64 v[156:157], v163
	s_wait_dscnt 0x3
	v_mul_f64_e32 v[92:93], v[174:175], v[50:51]
	v_mul_f64_e32 v[158:159], v[28:29], v[50:51]
	v_fma_f64 v[178:179], v[56:57], v[94:95], v[186:187]
	v_fma_f64 v[180:181], v[58:59], v[52:53], v[188:189]
	ds_load_2addr_b64 v[56:59], v164 offset0:50 offset1:55
	v_fma_f64 v[166:167], v[166:167], v[94:95], -v[190:191]
	v_mul_f64_e32 v[184:185], v[176:177], v[46:47]
	s_wait_dscnt 0x3
	v_mul_f64_e32 v[62:63], v[144:145], v[46:47]
	v_mul_f64_e32 v[86:87], v[142:143], v[50:51]
	s_wait_loadcnt_dscnt 0x802
	v_mul_f64_e32 v[182:183], v[38:39], v[100:101]
	v_fma_f64 v[186:187], v[40:41], v[94:95], v[194:195]
	v_fma_f64 v[40:41], v[170:171], v[94:95], -v[96:97]
	ds_load_b64 v[94:95], v165
	v_mul_f64_e32 v[46:47], v[30:31], v[46:47]
	v_fma_f64 v[96:97], v[42:43], v[52:53], v[196:197]
	v_mul_f64_e32 v[170:171], v[70:71], v[100:101]
	v_fma_f64 v[168:169], v[168:169], v[52:53], -v[192:193]
	s_wait_dscnt 0x2
	v_mul_f64_e32 v[42:43], v[156:157], v[100:101]
	v_mul_f64_e32 v[100:101], v[2:3], v[100:101]
	v_fma_f64 v[160:161], v[172:173], v[52:53], -v[160:161]
	s_wait_loadcnt_dscnt 0x701
	v_mul_f64_e32 v[172:173], v[56:57], v[104:105]
	ds_load_2addr_b64 v[50:53], v164 offset0:80 offset1:85
	v_fma_f64 v[190:191], v[28:29], v[48:49], v[92:93]
	v_fma_f64 v[28:29], v[30:31], v[44:45], v[184:185]
	;; [unrolled: 1-line block ×3, first 2 shown]
	v_mul_f64_e32 v[34:35], v[24:25], v[104:105]
	v_fma_f64 v[104:105], v[142:143], v[48:49], -v[88:89]
	v_fma_f64 v[142:143], v[144:145], v[44:45], -v[90:91]
	s_wait_loadcnt 0x6
	v_mul_f64_e32 v[144:145], v[58:59], v[108:109]
	v_fma_f64 v[182:183], v[2:3], v[98:99], v[182:183]
	v_fma_f64 v[188:189], v[32:33], v[48:49], v[86:87]
	ds_load_2addr_b64 v[86:89], v164 offset0:110 offset1:115
	v_fma_f64 v[32:33], v[174:175], v[48:49], -v[158:159]
	v_mul_f64_e32 v[48:49], v[26:27], v[108:109]
	ds_load_2addr_b64 v[90:93], v164 offset0:140 offset1:145
	s_wait_loadcnt_dscnt 0x502
	v_mul_f64_e32 v[108:109], v[50:51], v[112:113]
	v_mul_f64_e32 v[30:31], v[20:21], v[112:113]
	v_fma_f64 v[2:3], v[176:177], v[44:45], -v[46:47]
	v_fma_f64 v[70:71], v[70:71], v[98:99], v[42:43]
	s_wait_loadcnt 0x4
	v_mul_f64_e32 v[44:45], v[52:53], v[116:117]
	v_mul_f64_e32 v[112:113], v[22:23], v[116:117]
	v_fma_f64 v[156:157], v[156:157], v[98:99], -v[170:171]
	v_fma_f64 v[98:99], v[38:39], v[98:99], -v[100:101]
	v_add_f64_e64 v[176:177], v[76:77], -v[78:79]
	v_fma_f64 v[170:171], v[24:25], v[102:103], v[172:173]
	v_add_f64_e32 v[172:173], v[152:153], v[166:167]
	s_wait_loadcnt_dscnt 0x301
	v_mul_f64_e32 v[116:117], v[86:87], v[125:126]
	v_mul_f64_e32 v[125:126], v[16:17], v[125:126]
	s_wait_loadcnt 0x2
	v_mul_f64_e32 v[100:101], v[88:89], v[129:130]
	v_mul_f64_e32 v[129:130], v[18:19], v[129:130]
	s_wait_loadcnt_dscnt 0x100
	v_mul_f64_e32 v[158:159], v[90:91], v[133:134]
	v_fma_f64 v[42:43], v[56:57], v[102:103], -v[34:35]
	v_mul_f64_e32 v[102:103], v[12:13], v[133:134]
	s_wait_loadcnt 0x0
	v_mul_f64_e32 v[133:134], v[92:93], v[140:141]
	v_fma_f64 v[26:27], v[26:27], v[106:107], v[144:145]
	v_add_f64_e32 v[144:145], v[68:69], v[182:183]
	v_mul_f64_e32 v[140:141], v[14:15], v[140:141]
	v_add_f64_e64 v[174:175], v[104:105], -v[166:167]
	v_fma_f64 v[24:25], v[58:59], v[106:107], -v[48:49]
	ds_load_2addr_b64 v[56:59], v164 offset0:5 offset1:10
	v_fma_f64 v[106:107], v[20:21], v[110:111], v[108:109]
	v_fma_f64 v[46:47], v[50:51], v[110:111], -v[30:31]
	v_add_f64_e32 v[48:49], v[78:79], v[180:181]
	v_add_f64_e32 v[50:51], v[76:77], v[62:63]
	;; [unrolled: 1-line block ×4, first 2 shown]
	v_fma_f64 v[30:31], v[22:23], v[114:115], v[44:45]
	v_fma_f64 v[20:21], v[52:53], v[114:115], -v[112:113]
	v_add_f64_e32 v[52:53], v[146:147], v[178:179]
	v_add_f64_e32 v[112:113], v[182:183], v[188:189]
	;; [unrolled: 1-line block ×3, first 2 shown]
	v_add_f64_e64 v[184:185], v[156:157], -v[32:33]
	v_add_f64_e64 v[192:193], v[156:157], -v[74:75]
	v_fma_f64 v[172:173], v[172:173], -0.5, v[94:95]
	v_fma_f64 v[44:45], v[16:17], v[123:124], v[116:117]
	v_fma_f64 v[38:39], v[86:87], v[123:124], -v[125:126]
	v_add_f64_e32 v[86:87], v[94:95], v[98:99]
	v_fma_f64 v[34:35], v[18:19], v[127:128], v[100:101]
	v_add_f64_e32 v[100:101], v[154:155], v[168:169]
	v_fma_f64 v[22:23], v[88:89], v[127:128], -v[129:130]
	v_add_f64_e64 v[88:89], v[182:183], -v[146:147]
	v_add_f64_e64 v[125:126], v[188:189], -v[178:179]
	;; [unrolled: 1-line block ×4, first 2 shown]
	v_fma_f64 v[16:17], v[12:13], v[131:132], v[158:159]
	v_add_f64_e64 v[158:159], v[98:99], -v[152:153]
	v_add_f64_e32 v[116:117], v[74:75], v[40:41]
	v_fma_f64 v[12:13], v[90:91], v[131:132], -v[102:103]
	v_fma_f64 v[18:19], v[14:15], v[138:139], v[133:134]
	v_add_f64_e32 v[90:91], v[98:99], v[104:105]
	v_add_f64_e64 v[102:103], v[152:153], -v[98:99]
	v_add_f64_e64 v[131:132], v[166:167], -v[104:105]
	v_add_f64_e32 v[133:134], v[8:9], v[76:77]
	v_add_f64_e32 v[144:145], v[144:145], v[146:147]
	v_fma_f64 v[14:15], v[92:93], v[138:139], -v[140:141]
	s_wait_dscnt 0x0
	v_add_f64_e32 v[138:139], v[56:57], v[118:119]
	v_add_f64_e32 v[123:124], v[156:157], v[32:33]
	;; [unrolled: 1-line block ×4, first 2 shown]
	v_fma_f64 v[48:49], v[48:49], -0.5, v[8:9]
	v_fma_f64 v[8:9], v[50:51], -0.5, v[8:9]
	;; [unrolled: 1-line block ×4, first 2 shown]
	v_add_f64_e64 v[108:109], v[62:63], -v[180:181]
	v_add_f64_e64 v[110:111], v[78:79], -v[76:77]
	v_fma_f64 v[52:53], v[52:53], -0.5, v[68:69]
	v_fma_f64 v[68:69], v[112:113], -0.5, v[68:69]
	v_add_f64_e64 v[112:113], v[180:181], -v[62:63]
	v_add_f64_e64 v[98:99], v[98:99], -v[104:105]
	v_fma_f64 v[114:115], v[114:115], -0.5, v[56:57]
	v_add_f64_e64 v[182:183], v[182:183], -v[188:189]
	v_add_f64_e64 v[146:147], v[146:147], -v[178:179]
	;; [unrolled: 1-line block ×4, first 2 shown]
	v_add_f64_e32 v[86:87], v[86:87], v[152:153]
	v_add_f64_e64 v[152:153], v[152:153], -v[166:167]
	v_fma_f64 v[100:101], v[100:101], -0.5, v[56:57]
	v_add_f64_e64 v[56:57], v[118:119], -v[154:155]
	v_add_f64_e32 v[88:89], v[88:89], v[125:126]
	v_add_f64_e64 v[125:126], v[154:155], -v[118:119]
	v_add_f64_e32 v[127:128], v[127:128], v[129:130]
	;; [unrolled: 2-line block ×3, first 2 shown]
	v_add_f64_e64 v[174:175], v[70:71], -v[72:73]
	v_add_f64_e64 v[118:119], v[118:119], -v[142:143]
	v_fma_f64 v[116:117], v[116:117], -0.5, v[58:59]
	v_fma_f64 v[90:91], v[90:91], -0.5, v[94:95]
	v_add_f64_e64 v[94:95], v[190:191], -v[186:187]
	v_add_f64_e32 v[102:103], v[102:103], v[131:132]
	v_add_f64_e32 v[131:132], v[133:134], v[78:79]
	v_add_f64_e64 v[133:134], v[72:73], -v[70:71]
	v_add_f64_e32 v[144:145], v[144:145], v[178:179]
	v_add_f64_e64 v[178:179], v[186:187], -v[190:191]
	v_add_f64_e32 v[138:139], v[138:139], v[154:155]
	v_add_f64_e64 v[154:155], v[154:155], -v[168:169]
	v_fma_f64 v[58:59], v[123:124], -0.5, v[58:59]
	v_add_f64_e64 v[123:124], v[142:143], -v[168:169]
	v_add_f64_e32 v[92:93], v[92:93], v[72:73]
	v_add_f64_e64 v[78:79], v[78:79], -v[180:181]
	v_add_f64_e64 v[70:71], v[70:71], -v[190:191]
	v_add_f64_e32 v[108:109], v[176:177], v[108:109]
	v_add_f64_e64 v[72:73], v[72:73], -v[186:187]
	v_add_f64_e32 v[110:111], v[110:111], v[112:113]
	v_fma_f64 v[176:177], v[98:99], s[4:5], v[52:53]
	v_fma_f64 v[52:53], v[98:99], s[10:11], v[52:53]
	;; [unrolled: 1-line block ×4, first 2 shown]
	v_add_f64_e32 v[86:87], v[86:87], v[166:167]
	v_fma_f64 v[166:167], v[152:153], s[10:11], v[68:69]
	v_fma_f64 v[68:69], v[152:153], s[4:5], v[68:69]
	v_add_f64_e32 v[125:126], v[125:126], v[129:130]
	v_fma_f64 v[129:130], v[146:147], s[4:5], v[90:91]
	v_fma_f64 v[90:91], v[146:147], s[10:11], v[90:91]
	v_add_f64_e32 v[94:95], v[174:175], v[94:95]
	v_add_f64_e32 v[131:132], v[131:132], v[180:181]
	v_add_f64_e64 v[180:181], v[74:75], -v[40:41]
	v_add_f64_e32 v[74:75], v[140:141], v[74:75]
	v_add_f64_e32 v[133:134], v[133:134], v[178:179]
	;; [unrolled: 1-line block ×3, first 2 shown]
	v_fma_f64 v[168:169], v[154:155], s[10:11], v[8:9]
	v_fma_f64 v[178:179], v[154:155], s[4:5], v[8:9]
	v_add_f64_e64 v[140:141], v[32:33], -v[40:41]
	v_add_f64_e32 v[8:9], v[144:145], v[188:189]
	v_add_f64_e32 v[144:145], v[60:61], v[96:97]
	v_fma_f64 v[174:175], v[118:119], s[4:5], v[48:49]
	v_fma_f64 v[48:49], v[118:119], s[10:11], v[48:49]
	v_add_f64_e32 v[123:124], v[56:57], v[123:124]
	v_add_f64_e32 v[92:93], v[92:93], v[186:187]
	v_add_f64_e64 v[186:187], v[40:41], -v[32:33]
	v_fma_f64 v[176:177], v[152:153], s[14:15], v[176:177]
	v_fma_f64 v[52:53], v[152:153], s[16:17], v[52:53]
	v_add_f64_e64 v[152:153], v[66:67], -v[60:61]
	v_add_f64_e32 v[56:57], v[86:87], v[104:105]
	v_fma_f64 v[166:167], v[98:99], s[14:15], v[166:167]
	v_fma_f64 v[68:69], v[98:99], s[16:17], v[68:69]
	v_add_f64_e64 v[98:99], v[28:29], -v[96:97]
	v_add_f64_e32 v[86:87], v[66:67], v[28:29]
	v_fma_f64 v[104:105], v[146:147], s[16:17], v[112:113]
	v_fma_f64 v[112:113], v[146:147], s[14:15], v[172:173]
	;; [unrolled: 1-line block ×9, first 2 shown]
	v_add_f64_e32 v[62:63], v[131:132], v[62:63]
	v_fma_f64 v[131:132], v[184:185], s[4:5], v[50:51]
	v_fma_f64 v[188:189], v[180:181], s[10:11], v[10:11]
	;; [unrolled: 1-line block ×3, first 2 shown]
	v_add_f64_e32 v[138:139], v[138:139], v[142:143]
	v_fma_f64 v[168:169], v[118:119], s[14:15], v[168:169]
	v_fma_f64 v[118:119], v[118:119], s[16:17], v[178:179]
	v_add_f64_e32 v[142:143], v[54:55], v[160:161]
	v_add_f64_e32 v[140:141], v[192:193], v[140:141]
	;; [unrolled: 1-line block ×3, first 2 shown]
	v_fma_f64 v[74:75], v[70:71], s[10:11], v[116:117]
	v_fma_f64 v[116:117], v[70:71], s[4:5], v[116:117]
	;; [unrolled: 1-line block ×4, first 2 shown]
	v_add_f64_e64 v[192:193], v[64:65], -v[2:3]
	v_fma_f64 v[144:145], v[144:145], -0.5, v[4:5]
	v_fma_f64 v[174:175], v[154:155], s[14:15], v[174:175]
	v_fma_f64 v[154:155], v[154:155], s[16:17], v[48:49]
	ds_load_2addr_b64 v[48:51], v164 offset0:15 offset1:20
	v_fma_f64 v[176:177], v[88:89], s[12:13], v[176:177]
	v_fma_f64 v[52:53], v[88:89], s[12:13], v[52:53]
	v_add_f64_e32 v[88:89], v[170:171], v[16:17]
	v_add_f64_e32 v[156:157], v[156:157], v[186:187]
	v_fma_f64 v[166:167], v[127:128], s[12:13], v[166:167]
	v_fma_f64 v[68:69], v[127:128], s[12:13], v[68:69]
	v_add_f64_e32 v[98:99], v[152:153], v[98:99]
	v_fma_f64 v[86:87], v[86:87], -0.5, v[4:5]
	v_add_f64_e32 v[4:5], v[4:5], v[66:67]
	v_fma_f64 v[104:105], v[158:159], s[12:13], v[104:105]
	v_fma_f64 v[146:147], v[78:79], s[16:17], v[146:147]
	v_fma_f64 v[78:79], v[78:79], s[14:15], v[100:101]
	v_add_f64_e64 v[100:101], v[54:55], -v[160:161]
	v_fma_f64 v[152:153], v[76:77], s[16:17], v[172:173]
	v_fma_f64 v[76:77], v[76:77], s[14:15], v[114:115]
	;; [unrolled: 1-line block ×6, first 2 shown]
	s_wait_dscnt 0x0
	v_add_f64_e32 v[114:115], v[48:49], v[64:65]
	v_fma_f64 v[131:132], v[180:181], s[14:15], v[131:132]
	v_add_f64_e64 v[180:181], v[66:67], -v[28:29]
	v_fma_f64 v[182:183], v[184:185], s[14:15], v[188:189]
	v_fma_f64 v[10:11], v[184:185], s[16:17], v[10:11]
	v_add_f64_e32 v[184:185], v[64:65], v[2:3]
	v_fma_f64 v[129:130], v[110:111], s[12:13], v[168:169]
	v_fma_f64 v[142:143], v[142:143], -0.5, v[48:49]
	v_fma_f64 v[110:111], v[110:111], s[12:13], v[118:119]
	v_add_f64_e64 v[66:67], v[60:61], -v[66:67]
	v_fma_f64 v[74:75], v[72:73], s[16:17], v[74:75]
	v_fma_f64 v[72:73], v[72:73], s[14:15], v[116:117]
	v_add_f64_e32 v[116:117], v[106:107], v[44:45]
	v_fma_f64 v[178:179], v[70:71], s[16:17], v[178:179]
	v_fma_f64 v[58:59], v[70:71], s[14:15], v[58:59]
	;; [unrolled: 1-line block ×6, first 2 shown]
	v_add_f64_e64 v[154:155], v[64:65], -v[54:55]
	v_add_f64_e64 v[158:159], v[2:3], -v[160:161]
	v_fma_f64 v[88:89], v[88:89], -0.5, v[6:7]
	v_add_f64_e64 v[186:187], v[44:45], -v[16:17]
	v_add_f64_e32 v[92:93], v[92:93], v[190:191]
	v_add_f64_e64 v[190:191], v[34:35], -v[18:19]
	global_wb scope:SCOPE_SE
	s_barrier_signal -1
	v_add_f64_e32 v[4:5], v[4:5], v[60:61]
	v_add_f64_e64 v[60:61], v[60:61], -v[96:97]
	v_fma_f64 v[118:119], v[123:124], s[12:13], v[146:147]
	v_fma_f64 v[78:79], v[123:124], s[12:13], v[78:79]
	;; [unrolled: 1-line block ×4, first 2 shown]
	v_add_f64_e64 v[146:147], v[96:97], -v[28:29]
	v_fma_f64 v[174:175], v[125:126], s[12:13], v[152:153]
	v_fma_f64 v[76:77], v[125:126], s[12:13], v[76:77]
	v_add_f64_e64 v[125:126], v[42:43], -v[12:13]
	v_add_f64_e64 v[152:153], v[46:47], -v[38:39]
	v_add_f64_e32 v[114:115], v[114:115], v[54:55]
	v_add_f64_e64 v[54:55], v[54:55], -v[64:65]
	v_add_f64_e32 v[64:65], v[46:47], v[38:39]
	s_barrier_wait -1
	v_fma_f64 v[10:11], v[133:134], s[12:13], v[10:11]
	v_fma_f64 v[48:49], v[184:185], -0.5, v[48:49]
	v_add_f64_e64 v[184:185], v[160:161], -v[2:3]
	v_fma_f64 v[168:169], v[180:181], s[10:11], v[142:143]
	v_fma_f64 v[142:143], v[180:181], s[4:5], v[142:143]
	global_inv scope:SCOPE_SE
	ds_store_2addr_b64 v164, v[8:9], v[62:63] offset1:5
	ds_store_2addr_b64 v164, v[176:177], v[102:103] offset0:10 offset1:15
	ds_store_2addr_b64 v164, v[166:167], v[129:130] offset0:20 offset1:25
	;; [unrolled: 1-line block ×3, first 2 shown]
	v_fma_f64 v[116:117], v[116:117], -0.5, v[6:7]
	v_fma_f64 v[70:71], v[100:101], s[14:15], v[70:71]
	v_fma_f64 v[100:101], v[100:101], s[16:17], v[144:145]
	v_add_f64_e32 v[144:145], v[42:43], v[12:13]
	v_add_f64_e32 v[6:7], v[6:7], v[170:171]
	v_lshl_add_u32 v63, v85, 3, v81
	v_lshl_add_u32 v62, v122, 3, v81
	v_fma_f64 v[74:75], v[140:141], s[12:13], v[74:75]
	v_fma_f64 v[72:73], v[140:141], s[12:13], v[72:73]
	;; [unrolled: 1-line block ×3, first 2 shown]
	v_add_f64_e32 v[4:5], v[4:5], v[96:97]
	v_add_f64_e32 v[96:97], v[154:155], v[158:159]
	v_add_f64_e64 v[158:159], v[16:17], -v[44:45]
	v_fma_f64 v[58:59], v[156:157], s[12:13], v[58:59]
	v_fma_f64 v[123:124], v[192:193], s[14:15], v[123:124]
	;; [unrolled: 1-line block ×3, first 2 shown]
	v_add_f64_e32 v[66:67], v[66:67], v[146:147]
	v_add_f64_e64 v[192:193], v[14:15], -v[22:23]
	v_fma_f64 v[188:189], v[152:153], s[10:11], v[88:89]
	v_fma_f64 v[88:89], v[152:153], s[4:5], v[88:89]
	v_fma_f64 v[64:65], v[64:65], -0.5, v[50:51]
	v_fma_f64 v[154:155], v[60:61], s[4:5], v[48:49]
	v_fma_f64 v[48:49], v[60:61], s[10:11], v[48:49]
	v_fma_f64 v[146:147], v[60:61], s[16:17], v[168:169]
	v_fma_f64 v[142:143], v[60:61], s[14:15], v[142:143]
	v_add_f64_e32 v[60:61], v[114:115], v[160:161]
	v_add_f64_e64 v[114:115], v[170:171], -v[106:107]
	v_add_f64_e64 v[168:169], v[106:107], -v[170:171]
	;; [unrolled: 1-line block ×3, first 2 shown]
	v_add_f64_e32 v[54:55], v[54:55], v[184:185]
	v_add_f64_e64 v[184:185], v[106:107], -v[44:45]
	v_fma_f64 v[160:161], v[125:126], s[4:5], v[116:117]
	v_fma_f64 v[116:117], v[125:126], s[10:11], v[116:117]
	v_fma_f64 v[144:145], v[144:145], -0.5, v[50:51]
	v_add_f64_e32 v[50:51], v[50:51], v[42:43]
	v_add_f64_e32 v[6:7], v[6:7], v[106:107]
	;; [unrolled: 1-line block ×4, first 2 shown]
	v_fma_f64 v[28:29], v[98:99], s[12:13], v[70:71]
	v_fma_f64 v[88:89], v[125:126], s[16:17], v[88:89]
	;; [unrolled: 1-line block ×5, first 2 shown]
	v_add_f64_e32 v[60:61], v[60:61], v[2:3]
	v_add_f64_e32 v[114:115], v[114:115], v[158:159]
	v_fma_f64 v[180:181], v[170:171], s[10:11], v[64:65]
	v_fma_f64 v[64:65], v[170:171], s[4:5], v[64:65]
	;; [unrolled: 1-line block ×4, first 2 shown]
	v_add_f64_e32 v[152:153], v[168:169], v[186:187]
	v_fma_f64 v[160:161], v[125:126], s[14:15], v[188:189]
	v_add_f64_e64 v[125:126], v[42:43], -v[46:47]
	v_add_f64_e64 v[168:169], v[12:13], -v[38:39]
	v_add_f64_e32 v[50:51], v[50:51], v[46:47]
	v_add_f64_e64 v[42:43], v[46:47], -v[42:43]
	v_add_f64_e64 v[46:47], v[38:39], -v[12:13]
	v_fma_f64 v[186:187], v[184:185], s[4:5], v[144:145]
	v_fma_f64 v[144:145], v[184:185], s[10:11], v[144:145]
	v_add_f64_e32 v[188:189], v[26:27], v[18:19]
	v_add_f64_e32 v[6:7], v[6:7], v[44:45]
	v_fma_f64 v[44:45], v[106:107], -0.5, v[0:1]
	v_add_f64_e64 v[106:107], v[24:25], -v[14:15]
	v_fma_f64 v[64:65], v[184:185], s[14:15], v[64:65]
	v_fma_f64 v[88:89], v[152:153], s[12:13], v[88:89]
	v_add_f64_e32 v[125:126], v[125:126], v[168:169]
	v_fma_f64 v[168:169], v[184:185], s[16:17], v[180:181]
	v_add_f64_e32 v[38:39], v[50:51], v[38:39]
	v_add_f64_e32 v[42:43], v[42:43], v[46:47]
	v_fma_f64 v[46:47], v[170:171], s[16:17], v[186:187]
	v_fma_f64 v[50:51], v[170:171], s[14:15], v[144:145]
	v_fma_f64 v[144:145], v[188:189], -0.5, v[0:1]
	v_add_f64_e64 v[170:171], v[26:27], -v[30:31]
	v_add_f64_e64 v[180:181], v[18:19], -v[34:35]
	v_fma_f64 v[184:185], v[106:107], s[4:5], v[44:45]
	v_add_f64_e64 v[186:187], v[20:21], -v[22:23]
	v_fma_f64 v[44:45], v[106:107], s[10:11], v[44:45]
	v_add_f64_e64 v[188:189], v[30:31], -v[26:27]
	v_add_f64_e32 v[0:1], v[0:1], v[26:27]
	v_add_f64_e64 v[26:27], v[26:27], -v[18:19]
	v_add_f64_e32 v[2:3], v[6:7], v[16:17]
	v_fma_f64 v[6:7], v[114:115], s[12:13], v[158:159]
	v_fma_f64 v[16:17], v[114:115], s[12:13], v[116:117]
	;; [unrolled: 1-line block ×4, first 2 shown]
	v_add_f64_e32 v[116:117], v[38:39], v[12:13]
	v_add_f64_e32 v[170:171], v[170:171], v[180:181]
	v_fma_f64 v[180:181], v[186:187], s[14:15], v[184:185]
	v_fma_f64 v[44:45], v[186:187], s[16:17], v[44:45]
	;; [unrolled: 1-line block ×4, first 2 shown]
	v_add_f64_e32 v[186:187], v[188:189], v[190:191]
	v_add_f64_e32 v[188:189], v[20:21], v[22:23]
	v_add_f64_e32 v[190:191], v[24:25], v[14:15]
	v_add_f64_e32 v[0:1], v[0:1], v[30:31]
	v_add_f64_e64 v[30:31], v[30:31], -v[34:35]
	v_fma_f64 v[44:45], v[170:171], s[12:13], v[44:45]
	v_fma_f64 v[184:185], v[106:107], s[14:15], v[184:185]
	;; [unrolled: 1-line block ×3, first 2 shown]
	v_fma_f64 v[144:145], v[188:189], -0.5, v[36:37]
	v_fma_f64 v[188:189], v[190:191], -0.5, v[36:37]
	v_add_f64_e32 v[36:37], v[36:37], v[24:25]
	v_add_f64_e64 v[190:191], v[24:25], -v[20:21]
	v_add_f64_e32 v[0:1], v[0:1], v[34:35]
	s_delay_alu instid0(VALU_DEP_3) | instskip(NEXT) | instid1(VALU_DEP_3)
	v_add_f64_e32 v[36:37], v[36:37], v[20:21]
	v_add_f64_e32 v[34:35], v[190:191], v[192:193]
	v_fma_f64 v[190:191], v[26:27], s[10:11], v[144:145]
	v_fma_f64 v[144:145], v[26:27], s[4:5], v[144:145]
	v_add_f64_e64 v[20:21], v[20:21], -v[24:25]
	v_add_f64_e64 v[24:25], v[22:23], -v[14:15]
	v_fma_f64 v[192:193], v[30:31], s[4:5], v[188:189]
	v_fma_f64 v[188:189], v[30:31], s[10:11], v[188:189]
	v_add_f64_e32 v[0:1], v[0:1], v[18:19]
	v_fma_f64 v[18:19], v[186:187], s[12:13], v[184:185]
	v_add_f64_e32 v[22:23], v[36:37], v[22:23]
	v_fma_f64 v[36:37], v[94:95], s[12:13], v[131:132]
	v_fma_f64 v[190:191], v[30:31], s[16:17], v[190:191]
	;; [unrolled: 1-line block ×4, first 2 shown]
	v_add_f64_e32 v[20:21], v[20:21], v[24:25]
	v_fma_f64 v[24:25], v[26:27], s[16:17], v[192:193]
	v_fma_f64 v[26:27], v[26:27], s[14:15], v[188:189]
	;; [unrolled: 1-line block ×3, first 2 shown]
	v_add_f64_e32 v[133:134], v[40:41], v[32:33]
	v_fma_f64 v[32:33], v[98:99], s[12:13], v[100:101]
	v_fma_f64 v[40:41], v[66:67], s[12:13], v[123:124]
	;; [unrolled: 1-line block ×7, first 2 shown]
	ds_store_2addr_b64 v164, v[52:53], v[108:109] offset0:40 offset1:45
	ds_store_b64 v164, v[92:93] offset:400
	ds_store_b64 v164, v[36:37] offset:480
	;; [unrolled: 1-line block ×3, first 2 shown]
	ds_store_b64 v62, v[10:11]
	ds_store_b64 v164, v[4:5] offset:440
	ds_store_b64 v164, v[28:29] offset:520
	ds_store_2addr_b64 v164, v[40:41], v[66:67] offset0:75 offset1:85
	v_lshl_add_u32 v66, v83, 3, v81
	v_fma_f64 v[106:107], v[54:55], s[12:13], v[154:155]
	v_fma_f64 v[123:124], v[125:126], s[12:13], v[168:169]
	;; [unrolled: 1-line block ×4, first 2 shown]
	v_add_f64_e32 v[144:145], v[22:23], v[14:15]
	v_fma_f64 v[146:147], v[34:35], s[12:13], v[190:191]
	v_fma_f64 v[156:157], v[34:35], s[12:13], v[30:31]
	;; [unrolled: 1-line block ×4, first 2 shown]
	ds_store_2addr_b64 v164, v[94:95], v[32:33] offset0:90 offset1:95
	ds_store_2addr_b64 v63, v[2:3], v[6:7] offset0:100 offset1:110
	ds_store_2addr_b64 v63, v[96:97], v[88:89] offset0:120 offset1:130
	ds_store_b64 v63, v[16:17] offset:1120
	ds_store_2addr_b64 v66, v[0:1], v[98:99] offset0:100 offset1:110
	ds_store_2addr_b64 v66, v[18:19], v[100:101] offset0:120 offset1:130
	ds_store_b64 v66, v[44:45] offset:1120
	global_wb scope:SCOPE_SE
	s_wait_dscnt 0x0
	s_barrier_signal -1
	s_barrier_wait -1
	global_inv scope:SCOPE_SE
	ds_load_2addr_b64 v[40:43], v164 offset0:50 offset1:55
	ds_load_2addr_b64 v[36:39], v164 offset0:100 offset1:105
	;; [unrolled: 1-line block ×12, first 2 shown]
	ds_load_b64 v[154:155], v165
	ds_load_b64 v[152:153], v163
	ds_load_2addr_b64 v[52:55], v164 offset0:90 offset1:95
	ds_load_2addr_b64 v[32:35], v164 offset0:140 offset1:145
	global_wb scope:SCOPE_SE
	s_wait_dscnt 0x0
	s_barrier_signal -1
	s_barrier_wait -1
	global_inv scope:SCOPE_SE
	ds_store_2addr_b64 v164, v[56:57], v[138:139] offset1:5
	ds_store_2addr_b64 v164, v[104:105], v[118:119] offset0:10 offset1:15
	ds_store_2addr_b64 v164, v[127:128], v[174:175] offset0:20 offset1:25
	;; [unrolled: 1-line block ×4, first 2 shown]
	ds_store_b64 v164, v[133:134] offset:400
	ds_store_b64 v164, v[74:75] offset:480
	;; [unrolled: 1-line block ×3, first 2 shown]
	ds_store_b64 v62, v[58:59]
	ds_store_b64 v164, v[60:61] offset:440
	ds_store_b64 v164, v[70:71] offset:520
	ds_store_2addr_b64 v164, v[106:107], v[114:115] offset0:75 offset1:85
	ds_store_2addr_b64 v164, v[72:73], v[86:87] offset0:90 offset1:95
	;; [unrolled: 1-line block ×4, first 2 shown]
	ds_store_b64 v63, v[64:65] offset:1120
	ds_store_2addr_b64 v66, v[144:145], v[146:147] offset0:100 offset1:110
	ds_store_2addr_b64 v66, v[158:159], v[160:161] offset0:120 offset1:130
	ds_store_b64 v66, v[156:157] offset:1120
	global_wb scope:SCOPE_SE
	s_wait_dscnt 0x0
	s_barrier_signal -1
	s_barrier_wait -1
	global_inv scope:SCOPE_SE
	s_and_saveexec_b32 s0, vcc_lo
	s_cbranch_execz .LBB0_14
; %bb.13:
	v_dual_mov_b32 v61, v151 :: v_dual_lshlrev_b32 v60, 1, v162
	v_mul_lo_u32 v158, s2, v137
	v_mad_co_u64_u32 v[156:157], null, s2, v136, 0
	s_delay_alu instid0(VALU_DEP_3)
	v_add_nc_u32_e32 v150, 0x5a, v60
	v_add_nc_u32_e32 v159, 5, v162
	;; [unrolled: 1-line block ×5, first 2 shown]
	v_lshlrev_b64_e32 v[56:57], 4, v[150:151]
	v_lshlrev_b32_e32 v150, 1, v121
	v_add_nc_u32_e32 v173, 25, v162
	v_add_nc_u32_e32 v174, 30, v162
	v_mul_hi_u32 v166, 0x51eb851f, v159
	v_mul_hi_u32 v167, 0x51eb851f, v160
	v_lshlrev_b64_e32 v[58:59], 4, v[150:151]
	v_add_nc_u32_e32 v150, 0x46, v60
	v_add_co_u32 v64, vcc_lo, s8, v56
	s_wait_alu 0xfffd
	v_add_co_ci_u32_e32 v65, vcc_lo, s9, v57, vcc_lo
	s_delay_alu instid0(VALU_DEP_3) | instskip(SKIP_4) | instid1(VALU_DEP_3)
	v_lshlrev_b64_e32 v[62:63], 4, v[150:151]
	v_add_nc_u32_e32 v150, 60, v60
	v_add_co_u32 v76, vcc_lo, s8, v58
	s_wait_alu 0xfffd
	v_add_co_ci_u32_e32 v77, vcc_lo, s9, v59, vcc_lo
	v_lshlrev_b64_e32 v[66:67], 4, v[150:151]
	v_lshlrev_b32_e32 v150, 1, v82
	global_load_b128 v[56:59], v[64:65], off offset:640
	v_add_nc_u32_e32 v175, 35, v162
	v_mul_hi_u32 v177, 0x51eb851f, v161
	v_add_nc_u32_e32 v176, 40, v162
	v_lshlrev_b64_e32 v[68:69], 4, v[150:151]
	v_lshlrev_b32_e32 v150, 1, v80
	global_load_b128 v[80:83], v[76:77], off offset:640
	v_mul_hi_u32 v178, 0x51eb851f, v172
	v_mul_hi_u32 v179, 0x51eb851f, v175
	v_lshrrev_b32_e32 v181, 4, v166
	v_lshlrev_b64_e32 v[70:71], 4, v[150:151]
	v_add_nc_u32_e32 v150, 30, v60
	v_lshrrev_b32_e32 v182, 4, v167
	v_mul_hi_u32 v180, 0x51eb851f, v176
	v_lshrrev_b32_e32 v177, 4, v177
	v_lshlrev_b64_e32 v[148:149], 4, v[148:149]
	v_lshlrev_b64_e32 v[72:73], 4, v[150:151]
	v_add_nc_u32_e32 v150, 20, v60
	v_lshlrev_b64_e32 v[60:61], 4, v[60:61]
	v_lshrrev_b32_e32 v178, 4, v178
	v_lshrrev_b32_e32 v185, 4, v179
	v_mul_lo_u32 v179, v177, 50
	v_lshlrev_b64_e32 v[74:75], 4, v[150:151]
	v_add_co_u32 v72, vcc_lo, s8, v72
	s_wait_alu 0xfffd
	v_add_co_ci_u32_e32 v73, vcc_lo, s9, v73, vcc_lo
	v_lshlrev_b32_e32 v150, 1, v84
	s_delay_alu instid0(VALU_DEP_4)
	v_add_co_u32 v74, vcc_lo, s8, v74
	s_wait_alu 0xfffd
	v_add_co_ci_u32_e32 v75, vcc_lo, s9, v75, vcc_lo
	s_clause 0x1
	global_load_b128 v[88:91], v[72:73], off offset:640
	global_load_b128 v[92:95], v[74:75], off offset:640
	v_add_co_u32 v60, vcc_lo, s8, v60
	s_wait_alu 0xfffd
	v_add_co_ci_u32_e32 v61, vcc_lo, s9, v61, vcc_lo
	s_clause 0x1
	global_load_b128 v[132:135], v[72:73], off offset:656
	global_load_b128 v[128:131], v[74:75], off offset:656
	v_lshrrev_b32_e32 v186, 4, v180
	global_load_b128 v[124:127], v[60:61], off offset:640
	v_lshlrev_b64_e32 v[72:73], 4, v[150:151]
	v_mul_lo_u32 v150, s3, v136
	v_mul_lo_u32 v180, v178, 50
	;; [unrolled: 1-line block ×4, first 2 shown]
	s_mov_b32 s0, 0xe8584caa
	v_add_co_u32 v72, vcc_lo, s8, v72
	s_wait_alu 0xfffd
	v_add_co_ci_u32_e32 v73, vcc_lo, s9, v73, vcc_lo
	s_clause 0x2
	global_load_b128 v[120:123], v[72:73], off offset:640
	global_load_b128 v[116:119], v[60:61], off offset:656
	;; [unrolled: 1-line block ×3, first 2 shown]
	v_add_co_u32 v60, vcc_lo, s8, v62
	s_wait_alu 0xfffd
	v_add_co_ci_u32_e32 v61, vcc_lo, s9, v63, vcc_lo
	s_clause 0x1
	global_load_b128 v[108:111], v[64:65], off offset:656
	global_load_b128 v[104:107], v[60:61], off offset:640
	v_add_co_u32 v62, vcc_lo, s8, v66
	s_wait_alu 0xfffd
	v_add_co_ci_u32_e32 v63, vcc_lo, s9, v67, vcc_lo
	v_add_co_u32 v78, vcc_lo, s8, v70
	s_wait_alu 0xfffd
	v_add_co_ci_u32_e32 v79, vcc_lo, s9, v71, vcc_lo
	global_load_b128 v[100:103], v[60:61], off offset:656
	v_add_co_u32 v60, vcc_lo, s8, v68
	s_wait_alu 0xfffd
	v_add_co_ci_u32_e32 v61, vcc_lo, s9, v69, vcc_lo
	s_clause 0x6
	global_load_b128 v[72:75], v[62:63], off offset:640
	global_load_b128 v[68:71], v[62:63], off offset:656
	;; [unrolled: 1-line block ×7, first 2 shown]
	v_add3_u32 v157, v157, v158, v150
	v_mul_hi_u32 v150, 0x51eb851f, v173
	v_mul_hi_u32 v158, 0x51eb851f, v174
	ds_load_2addr_b64 v[144:147], v164 offset0:90 offset1:95
	ds_load_2addr_b64 v[140:143], v164 offset0:60 offset1:65
	;; [unrolled: 1-line block ×3, first 2 shown]
	v_lshlrev_b64_e32 v[156:157], 4, v[156:157]
	ds_load_2addr_b64 v[168:171], v164 offset0:110 offset1:115
	s_mov_b32 s1, 0xbfebb67a
	s_mov_b32 s3, 0x3febb67a
	v_lshrrev_b32_e32 v183, 4, v150
	v_lshrrev_b32_e32 v184, 4, v158
	v_mul_lo_u32 v150, v181, 50
	v_mul_lo_u32 v158, v182, 50
	v_add_co_u32 v156, vcc_lo, s6, v156
	s_wait_alu 0xfffd
	v_add_co_ci_u32_e32 v157, vcc_lo, s7, v157, vcc_lo
	v_mul_lo_u32 v187, v183, 50
	s_delay_alu instid0(VALU_DEP_3)
	v_add_co_u32 v166, vcc_lo, v156, v148
	v_mul_lo_u32 v188, v184, 50
	s_wait_alu 0xfffd
	v_add_co_ci_u32_e32 v167, vcc_lo, v157, v149, vcc_lo
	v_sub_nc_u32_e32 v148, v159, v150
	v_sub_nc_u32_e32 v149, v160, v158
	;; [unrolled: 1-line block ×6, first 2 shown]
	v_mad_co_u64_u32 v[172:173], null, 0x96, v181, v[148:149]
	v_sub_nc_u32_e32 v159, v175, v189
	v_mad_co_u64_u32 v[174:175], null, 0x96, v182, v[149:150]
	v_mov_b32_e32 v173, v151
	v_sub_nc_u32_e32 v160, v176, v190
	v_mad_co_u64_u32 v[176:177], null, 0x96, v177, v[150:151]
	v_mov_b32_e32 v175, v151
	s_delay_alu instid0(VALU_DEP_4)
	v_lshlrev_b64_e32 v[148:149], 4, v[172:173]
	v_mad_co_u64_u32 v[178:179], null, 0x96, v178, v[156:157]
	v_mov_b32_e32 v177, v151
	v_mad_co_u64_u32 v[180:181], null, 0x96, v183, v[157:158]
	v_mad_co_u64_u32 v[182:183], null, 0x96, v184, v[158:159]
	;; [unrolled: 1-line block ×3, first 2 shown]
	v_lshlrev_b64_e32 v[158:159], 4, v[174:175]
	v_mov_b32_e32 v179, v151
	v_mad_co_u64_u32 v[186:187], null, 0x96, v186, v[160:161]
	v_lshlrev_b64_e32 v[160:161], 4, v[176:177]
	v_add_co_u32 v156, vcc_lo, v166, v148
	v_mov_b32_e32 v181, v151
	s_wait_alu 0xfffd
	v_add_co_ci_u32_e32 v157, vcc_lo, v167, v149, vcc_lo
	v_lshlrev_b64_e32 v[188:189], 4, v[178:179]
	v_add_co_u32 v158, vcc_lo, v166, v158
	v_mov_b32_e32 v183, v151
	s_wait_alu 0xfffd
	v_add_co_ci_u32_e32 v159, vcc_lo, v167, v159, vcc_lo
	v_lshlrev_b64_e32 v[190:191], 4, v[180:181]
	v_add_co_u32 v160, vcc_lo, v166, v160
	s_wait_alu 0xfffd
	v_add_co_ci_u32_e32 v161, vcc_lo, v167, v161, vcc_lo
	v_lshlrev_b64_e32 v[192:193], 4, v[182:183]
	v_add_co_u32 v148, vcc_lo, v166, v188
	s_wait_alu 0xfffd
	v_add_co_ci_u32_e32 v149, vcc_lo, v167, v189, vcc_lo
	v_mov_b32_e32 v185, v151
	v_dual_mov_b32 v187, v151 :: v_dual_add_nc_u32 v150, 50, v172
	s_wait_alu 0xfffe
	s_mov_b32 s2, s0
	s_delay_alu instid0(VALU_DEP_2)
	v_lshlrev_b64_e32 v[194:195], 4, v[184:185]
	s_wait_loadcnt 0x13
	v_mul_f64_e32 v[196:197], v[54:55], v[58:59]
	s_wait_dscnt 0x3
	v_mul_f64_e32 v[198:199], v[146:147], v[58:59]
	s_wait_loadcnt 0x12
	v_mul_f64_e32 v[200:201], v[52:53], v[82:83]
	v_mul_f64_e32 v[202:203], v[144:145], v[82:83]
	v_add_co_u32 v82, vcc_lo, v166, v190
	s_wait_alu 0xfffd
	v_add_co_ci_u32_e32 v83, vcc_lo, v167, v191, vcc_lo
	v_add_co_u32 v58, vcc_lo, v166, v192
	s_wait_alu 0xfffd
	v_add_co_ci_u32_e32 v59, vcc_lo, v167, v193, vcc_lo
	s_wait_loadcnt 0x11
	v_mul_f64_e32 v[188:189], v[50:51], v[90:91]
	s_wait_dscnt 0x2
	v_mul_f64_e32 v[190:191], v[142:143], v[90:91]
	s_wait_loadcnt 0x10
	v_mul_f64_e32 v[192:193], v[48:49], v[94:95]
	v_add_co_u32 v90, vcc_lo, v166, v194
	s_wait_alu 0xfffd
	v_add_co_ci_u32_e32 v91, vcc_lo, v167, v195, vcc_lo
	v_lshlrev_b64_e32 v[194:195], 4, v[150:151]
	v_add_nc_u32_e32 v150, 0x64, v172
	v_lshlrev_b64_e32 v[172:173], 4, v[186:187]
	v_fma_f64 v[146:147], v[146:147], v[56:57], -v[196:197]
	v_fma_f64 v[56:57], v[54:55], v[56:57], v[198:199]
	s_wait_loadcnt 0xe
	v_mul_f64_e32 v[198:199], v[44:45], v[130:131]
	v_mul_f64_e32 v[196:197], v[46:47], v[134:135]
	v_fma_f64 v[144:145], v[144:145], v[80:81], -v[200:201]
	v_add_co_u32 v54, vcc_lo, v166, v172
	s_wait_alu 0xfffd
	v_add_co_ci_u32_e32 v55, vcc_lo, v167, v173, vcc_lo
	s_wait_dscnt 0x0
	v_mul_f64_e32 v[172:173], v[168:169], v[130:131]
	v_fma_f64 v[80:81], v[52:53], v[80:81], v[202:203]
	s_wait_loadcnt 0xd
	v_mul_f64_e32 v[200:201], v[40:41], v[126:127]
	v_mul_f64_e32 v[126:127], v[136:137], v[126:127]
	s_wait_loadcnt 0xc
	v_mul_f64_e32 v[202:203], v[42:43], v[122:123]
	v_mul_f64_e32 v[94:95], v[140:141], v[94:95]
	v_lshlrev_b64_e32 v[52:53], 4, v[150:151]
	v_mul_f64_e32 v[122:123], v[138:139], v[122:123]
	v_add_nc_u32_e32 v150, 50, v174
	v_add_co_u32 v194, vcc_lo, v166, v194
	s_wait_alu 0xfffd
	v_add_co_ci_u32_e32 v195, vcc_lo, v167, v195, vcc_lo
	s_delay_alu instid0(VALU_DEP_3)
	v_lshlrev_b64_e32 v[130:131], 4, v[150:151]
	v_add_nc_u32_e32 v150, 0x64, v174
	v_add_co_u32 v174, vcc_lo, v166, v52
	v_mul_f64_e32 v[134:135], v[170:171], v[134:135]
	s_wait_alu 0xfffd
	v_add_co_ci_u32_e32 v175, vcc_lo, v167, v53, vcc_lo
	v_fma_f64 v[187:188], v[142:143], v[88:89], -v[188:189]
	v_fma_f64 v[88:89], v[50:51], v[88:89], v[190:191]
	ds_load_2addr_b64 v[50:53], v164 offset0:100 offset1:105
	v_fma_f64 v[189:190], v[140:141], v[92:93], -v[192:193]
	ds_load_2addr_b64 v[140:143], v164 offset0:140 offset1:145
	v_lshlrev_b64_e32 v[204:205], 4, v[150:151]
	v_add_nc_u32_e32 v150, 50, v176
	v_add_co_u32 v206, vcc_lo, v166, v130
	s_wait_alu 0xfffd
	v_add_co_ci_u32_e32 v207, vcc_lo, v167, v131, vcc_lo
	s_delay_alu instid0(VALU_DEP_3)
	v_lshlrev_b64_e32 v[208:209], 4, v[150:151]
	v_add_nc_u32_e32 v150, 0x64, v176
	v_fma_f64 v[168:169], v[168:169], v[128:129], -v[198:199]
	v_fma_f64 v[170:171], v[170:171], v[132:133], -v[196:197]
	s_wait_loadcnt 0xa
	v_mul_f64_e32 v[196:197], v[38:39], v[114:115]
	v_add_nc_u32_e32 v193, 45, v162
	v_lshlrev_b64_e32 v[176:177], 4, v[150:151]
	v_fma_f64 v[128:129], v[44:45], v[128:129], v[172:173]
	v_mul_f64_e32 v[44:45], v[36:37], v[118:119]
	v_add_nc_u32_e32 v150, 50, v178
	v_fma_f64 v[136:137], v[136:137], v[124:125], -v[200:201]
	s_wait_dscnt 0x1
	v_mul_f64_e32 v[118:119], v[50:51], v[118:119]
	v_fma_f64 v[124:125], v[40:41], v[124:125], v[126:127]
	v_mul_f64_e32 v[114:115], v[52:53], v[114:115]
	v_fma_f64 v[126:127], v[138:139], v[120:121], -v[202:203]
	s_wait_loadcnt 0x9
	v_mul_f64_e32 v[138:139], v[34:35], v[110:111]
	s_wait_dscnt 0x0
	v_mul_f64_e32 v[110:111], v[142:143], v[110:111]
	v_add_co_u32 v172, vcc_lo, v166, v204
	v_lshlrev_b64_e32 v[40:41], 4, v[150:151]
	v_add_nc_u32_e32 v150, 0x64, v178
	s_wait_alu 0xfffd
	v_add_co_ci_u32_e32 v173, vcc_lo, v167, v205, vcc_lo
	v_add_co_u32 v198, vcc_lo, v166, v208
	v_fma_f64 v[191:192], v[48:49], v[92:93], v[94:95]
	ds_load_2addr_b64 v[92:95], v164 offset0:80 offset1:85
	s_wait_alu 0xfffd
	v_add_co_ci_u32_e32 v199, vcc_lo, v167, v209, vcc_lo
	v_fma_f64 v[120:121], v[42:43], v[120:121], v[122:123]
	v_add_co_u32 v176, vcc_lo, v166, v176
	v_lshlrev_b64_e32 v[42:43], 4, v[150:151]
	v_add_nc_u32_e32 v150, 50, v180
	s_wait_alu 0xfffd
	v_add_co_ci_u32_e32 v177, vcc_lo, v167, v177, vcc_lo
	v_add_co_u32 v200, vcc_lo, v166, v40
	s_wait_alu 0xfffd
	v_add_co_ci_u32_e32 v201, vcc_lo, v167, v41, vcc_lo
	v_lshlrev_b64_e32 v[122:123], 4, v[150:151]
	v_add_nc_u32_e32 v150, 0x64, v180
	v_add_co_u32 v180, vcc_lo, v166, v42
	v_fma_f64 v[134:135], v[46:47], v[132:133], v[134:135]
	ds_load_2addr_b64 v[46:49], v164 offset0:130 offset1:135
	ds_load_2addr_b64 v[130:133], v164 offset0:70 offset1:75
	s_wait_alu 0xfffd
	v_add_co_ci_u32_e32 v181, vcc_lo, v167, v43, vcc_lo
	ds_load_2addr_b64 v[40:43], v164 offset0:120 offset1:125
	s_wait_loadcnt 0x8
	v_mul_f64_e32 v[178:179], v[30:31], v[106:107]
	s_wait_dscnt 0x3
	v_mul_f64_e32 v[106:107], v[94:95], v[106:107]
	v_fma_f64 v[202:203], v[50:51], v[116:117], -v[44:45]
	v_fma_f64 v[116:117], v[36:37], v[116:117], v[118:119]
	s_wait_loadcnt 0x7
	v_mul_f64_e32 v[36:37], v[26:27], v[102:103]
	v_fma_f64 v[52:53], v[52:53], v[112:113], -v[196:197]
	v_fma_f64 v[112:113], v[38:39], v[112:113], v[114:115]
	s_wait_loadcnt 0x4
	v_mul_f64_e32 v[114:115], v[20:21], v[98:99]
	s_wait_loadcnt 0x3
	v_mul_f64_e32 v[118:119], v[22:23], v[66:67]
	v_fma_f64 v[138:139], v[142:143], v[108:109], -v[138:139]
	v_fma_f64 v[142:143], v[34:35], v[108:109], v[110:111]
	s_wait_loadcnt 0x2
	v_mul_f64_e32 v[108:109], v[18:19], v[62:63]
	s_wait_loadcnt 0x1
	v_mul_f64_e32 v[110:111], v[16:17], v[86:87]
	v_mul_f64_e32 v[38:39], v[24:25], v[70:71]
	v_lshlrev_b64_e32 v[50:51], 4, v[150:151]
	s_wait_dscnt 0x2
	v_mul_f64_e32 v[44:45], v[48:49], v[102:103]
	v_mul_f64_e32 v[102:103], v[28:29], v[74:75]
	s_wait_dscnt 0x1
	v_mul_f64_e32 v[98:99], v[130:131], v[98:99]
	v_mul_f64_e32 v[74:75], v[92:93], v[74:75]
	;; [unrolled: 3-line block ×3, first 2 shown]
	v_add_nc_u32_e32 v150, 50, v182
	v_add_f64_e32 v[208:209], v[191:192], v[128:129]
	v_fma_f64 v[94:95], v[94:95], v[104:105], -v[178:179]
	v_fma_f64 v[30:31], v[30:31], v[104:105], v[106:107]
	s_wait_loadcnt 0x0
	v_mul_f64_e32 v[106:107], v[32:33], v[78:79]
	v_mul_f64_e32 v[78:79], v[140:141], v[78:79]
	v_add_co_u32 v178, vcc_lo, v166, v122
	s_wait_alu 0xfffd
	v_add_co_ci_u32_e32 v179, vcc_lo, v167, v123, vcc_lo
	v_fma_f64 v[122:123], v[48:49], v[100:101], -v[36:37]
	v_lshlrev_b64_e32 v[104:105], 4, v[150:151]
	v_add_nc_u32_e32 v150, 0x64, v182
	v_add_co_u32 v182, vcc_lo, v166, v50
	s_wait_alu 0xfffd
	v_add_co_ci_u32_e32 v183, vcc_lo, v167, v51, vcc_lo
	v_fma_f64 v[26:27], v[26:27], v[100:101], v[44:45]
	v_fma_f64 v[92:93], v[92:93], v[72:73], -v[102:103]
	v_fma_f64 v[20:21], v[20:21], v[96:97], v[98:99]
	v_fma_f64 v[98:99], v[132:133], v[64:65], -v[118:119]
	v_fma_f64 v[102:103], v[42:43], v[60:61], -v[108:109]
	;; [unrolled: 1-line block ×3, first 2 shown]
	v_fma_f64 v[84:85], v[16:17], v[84:85], v[86:87]
	v_mul_f64_e32 v[16:17], v[132:133], v[66:67]
	v_mul_f64_e32 v[42:43], v[42:43], v[62:63]
	v_fma_f64 v[100:101], v[130:131], v[96:97], -v[114:115]
	v_fma_f64 v[96:97], v[46:47], v[68:69], -v[38:39]
	v_mul_hi_u32 v44, 0x51eb851f, v162
	ds_load_b64 v[66:67], v165
	ds_load_b64 v[86:87], v163
	v_lshlrev_b64_e32 v[62:63], 4, v[150:151]
	v_add_nc_u32_e32 v150, 50, v184
	v_mul_hi_u32 v110, 0x51eb851f, v193
	v_fma_f64 v[28:29], v[28:29], v[72:73], v[74:75]
	v_add_f64_e32 v[72:73], v[56:57], v[142:143]
	v_lshrrev_b32_e32 v111, 4, v44
	v_add_f64_e32 v[74:75], v[146:147], v[138:139]
	v_fma_f64 v[24:25], v[24:25], v[68:69], v[70:71]
	v_add_f64_e32 v[70:71], v[88:89], v[134:135]
	v_add_f64_e32 v[196:197], v[124:125], v[116:117]
	ds_load_2addr_b64 v[34:37], v164 offset0:35 offset1:45
	v_fma_f64 v[118:119], v[140:141], v[76:77], -v[106:107]
	v_mul_lo_u32 v106, v111, 50
	v_add_co_u32 v140, vcc_lo, v166, v104
	v_fma_f64 v[130:131], v[32:33], v[76:77], v[78:79]
	v_lshlrev_b64_e32 v[78:79], 4, v[150:151]
	s_wait_alu 0xfffd
	v_add_co_ci_u32_e32 v141, vcc_lo, v167, v105, vcc_lo
	v_add_f64_e32 v[32:33], v[154:155], v[124:125]
	v_sub_nc_u32_e32 v219, v162, v106
	v_add_co_u32 v162, vcc_lo, v166, v62
	s_wait_dscnt 0x2
	v_add_f64_e32 v[76:77], v[66:67], v[136:137]
	v_add_f64_e32 v[104:105], v[30:31], v[26:27]
	;; [unrolled: 1-line block ×3, first 2 shown]
	s_wait_alu 0xfffd
	v_add_co_ci_u32_e32 v163, vcc_lo, v167, v63, vcc_lo
	v_add_f64_e32 v[68:69], v[98:99], v[102:103]
	ds_load_2addr_b64 v[48:51], v164 offset0:25 offset1:30
	ds_load_2addr_b64 v[38:41], v164 offset0:15 offset1:20
	v_fma_f64 v[22:23], v[22:23], v[64:65], v[16:17]
	v_add_f64_e32 v[64:65], v[20:21], v[84:85]
	v_fma_f64 v[42:43], v[18:19], v[60:61], v[42:43]
	ds_load_2addr_b64 v[44:47], v164 offset0:5 offset1:10
	v_add_co_u32 v164, vcc_lo, v166, v78
	v_lshrrev_b32_e32 v218, 4, v110
	v_add_f64_e32 v[62:63], v[92:93], v[96:97]
	v_add_f64_e32 v[110:111], v[100:101], v[108:109]
	s_wait_alu 0xfffd
	v_add_co_ci_u32_e32 v165, vcc_lo, v167, v79, vcc_lo
	v_add_f64_e32 v[78:79], v[136:137], v[202:203]
	v_add_f64_e32 v[132:133], v[187:188], v[170:171]
	;; [unrolled: 1-line block ×6, first 2 shown]
	v_add_f64_e64 v[124:125], v[124:125], -v[116:117]
	s_wait_dscnt 0x3
	v_fma_f64 v[214:215], v[74:75], -0.5, v[36:37]
	v_add_nc_u32_e32 v150, 0x64, v184
	v_add_f64_e64 v[222:223], v[20:21], -v[84:85]
	v_add_f64_e64 v[232:233], v[100:101], -v[108:109]
	v_add_f64_e32 v[226:227], v[86:87], v[144:145]
	v_add_f64_e64 v[230:231], v[98:99], -v[102:103]
	v_lshlrev_b64_e32 v[114:115], 4, v[150:151]
	v_add_nc_u32_e32 v150, 50, v186
	v_add_f64_e32 v[16:17], v[32:33], v[116:117]
	v_add_f64_e32 v[116:117], v[14:15], v[56:57]
	;; [unrolled: 1-line block ×3, first 2 shown]
	v_add_f64_e64 v[94:95], v[94:95], -v[122:123]
	v_add_f64_e32 v[18:19], v[76:77], v[202:203]
	v_add_f64_e64 v[76:77], v[136:137], -v[202:203]
	v_fma_f64 v[136:137], v[72:73], -0.5, v[14:15]
	v_fma_f64 v[72:73], v[104:105], -0.5, v[12:13]
	v_add_f64_e32 v[12:13], v[144:145], v[118:119]
	v_add_f64_e32 v[14:15], v[80:81], v[130:131]
	v_fma_f64 v[74:75], v[106:107], -0.5, v[34:35]
	s_wait_dscnt 0x2
	v_fma_f64 v[106:107], v[68:69], -0.5, v[48:49]
	v_add_f64_e32 v[34:35], v[48:49], v[98:99]
	v_fma_f64 v[48:49], v[64:65], -0.5, v[10:11]
	v_fma_f64 v[64:65], v[70:71], -0.5, v[8:9]
	;; [unrolled: 1-line block ×4, first 2 shown]
	v_add_f64_e32 v[208:209], v[22:23], v[42:43]
	v_lshlrev_b64_e32 v[184:185], 4, v[150:151]
	v_fma_f64 v[216:217], v[62:63], -0.5, v[50:51]
	s_wait_dscnt 0x1
	v_add_f64_e32 v[62:63], v[40:41], v[100:101]
	v_fma_f64 v[110:111], v[110:111], -0.5, v[40:41]
	v_add_nc_u32_e32 v150, 0x64, v186
	v_fma_f64 v[40:41], v[78:79], -0.5, v[66:67]
	v_add_f64_e32 v[66:67], v[28:29], v[24:25]
	v_mul_lo_u32 v186, v218, 50
	v_add_f64_e64 v[104:105], v[30:31], -v[26:27]
	v_add_f64_e32 v[30:31], v[50:51], v[92:93]
	v_add_f64_e32 v[50:51], v[8:9], v[88:89]
	v_fma_f64 v[68:69], v[132:133], -0.5, v[38:39]
	v_add_f64_e32 v[8:9], v[2:3], v[28:29]
	s_wait_dscnt 0x0
	v_fma_f64 v[132:133], v[204:205], -0.5, v[44:45]
	v_fma_f64 v[196:197], v[210:211], -0.5, v[4:5]
	v_add_f64_e32 v[204:205], v[4:5], v[120:121]
	v_add_f64_e32 v[4:5], v[212:213], v[26:27]
	;; [unrolled: 1-line block ×7, first 2 shown]
	v_add_f64_e64 v[120:121], v[120:121], -v[112:113]
	v_add_f64_e64 v[126:127], v[126:127], -v[52:53]
	v_add_f64_e32 v[78:79], v[46:47], v[189:190]
	v_fma_f64 v[60:61], v[60:61], -0.5, v[46:47]
	v_add_f64_e32 v[46:47], v[6:7], v[191:192]
	v_add_f64_e64 v[191:192], v[191:192], -v[128:129]
	v_add_f64_e64 v[189:190], v[189:190], -v[168:169]
	v_sub_nc_u32_e32 v10, v193, v186
	v_lshlrev_b32_e32 v11, 4, v219
	v_add_f64_e64 v[88:89], v[88:89], -v[134:135]
	v_add_f64_e64 v[186:187], v[187:188], -v[170:171]
	v_fma_f64 v[224:225], v[12:13], -0.5, v[86:87]
	v_add_f64_e64 v[144:145], v[144:145], -v[118:119]
	v_mad_co_u64_u32 v[210:211], null, 0x96, v218, v[10:11]
	v_add_f64_e64 v[218:219], v[80:81], -v[130:131]
	v_add_f64_e32 v[80:81], v[152:153], v[80:81]
	v_fma_f64 v[152:153], v[14:15], -0.5, v[152:153]
	v_add_f64_e64 v[220:221], v[22:23], -v[42:43]
	v_fma_f64 v[208:209], v[208:209], -0.5, v[0:1]
	v_add_f64_e64 v[56:57], v[56:57], -v[142:143]
	v_add_f64_e64 v[146:147], v[146:147], -v[138:139]
	v_add_f64_e32 v[6:7], v[32:33], v[122:123]
	v_add_f64_e64 v[122:123], v[28:29], -v[24:25]
	v_add_f64_e64 v[228:229], v[92:93], -v[96:97]
	v_fma_f64 v[234:235], v[66:67], -0.5, v[2:3]
	v_add_co_u32 v212, vcc_lo, v166, v11
	v_add_f64_e32 v[10:11], v[30:31], v[96:97]
	s_wait_alu 0xfffe
	v_fma_f64 v[30:31], v[124:125], s[2:3], v[40:41]
	v_fma_f64 v[28:29], v[76:77], s[0:1], v[70:71]
	v_add_f64_e32 v[8:9], v[8:9], v[24:25]
	v_fma_f64 v[24:25], v[76:77], s[2:3], v[70:71]
	v_add_f64_e32 v[0:1], v[26:27], v[42:43]
	;; [unrolled: 2-line block ×3, first 2 shown]
	v_add_f64_e32 v[22:23], v[38:39], v[170:171]
	v_add_f64_e32 v[38:39], v[44:45], v[52:53]
	;; [unrolled: 1-line block ×3, first 2 shown]
	v_fma_f64 v[86:87], v[120:121], s[2:3], v[132:133]
	v_fma_f64 v[84:85], v[126:127], s[0:1], v[196:197]
	v_add_f64_e32 v[2:3], v[34:35], v[102:103]
	v_add_f64_e32 v[34:35], v[78:79], v[168:169]
	v_fma_f64 v[78:79], v[120:121], s[0:1], v[132:133]
	v_fma_f64 v[76:77], v[126:127], s[2:3], v[196:197]
	v_add_f64_e32 v[32:33], v[46:47], v[128:129]
	v_fma_f64 v[40:41], v[94:95], s[2:3], v[72:73]
	v_fma_f64 v[44:45], v[94:95], s[0:1], v[72:73]
	;; [unrolled: 1-line block ×8, first 2 shown]
	v_add_f64_e32 v[20:21], v[50:51], v[134:135]
	v_fma_f64 v[98:99], v[88:89], s[2:3], v[68:69]
	v_fma_f64 v[96:97], v[186:187], s[0:1], v[64:65]
	;; [unrolled: 1-line block ×4, first 2 shown]
	v_add_f64_e32 v[14:15], v[62:63], v[108:109]
	v_fma_f64 v[102:103], v[222:223], s[2:3], v[110:111]
	v_fma_f64 v[100:101], v[232:233], s[0:1], v[48:49]
	s_wait_alu 0xfffd
	v_add_co_ci_u32_e32 v213, vcc_lo, 0, v167, vcc_lo
	v_fma_f64 v[66:67], v[222:223], s[0:1], v[110:111]
	v_fma_f64 v[64:65], v[232:233], s[2:3], v[48:49]
	v_add_f64_e32 v[112:113], v[116:117], v[142:143]
	v_add_f64_e32 v[118:119], v[226:227], v[118:119]
	;; [unrolled: 1-line block ×3, first 2 shown]
	v_add_co_u32 v52, vcc_lo, v166, v114
	v_fma_f64 v[134:135], v[218:219], s[2:3], v[224:225]
	v_fma_f64 v[132:133], v[144:145], s[0:1], v[152:153]
	;; [unrolled: 1-line block ×8, first 2 shown]
	s_wait_alu 0xfffd
	v_add_co_ci_u32_e32 v53, vcc_lo, v167, v115, vcc_lo
	v_add_f64_e32 v[114:115], v[202:203], v[138:139]
	v_fma_f64 v[126:127], v[56:57], s[2:3], v[214:215]
	v_fma_f64 v[124:125], v[146:147], s[0:1], v[136:137]
	;; [unrolled: 1-line block ×8, first 2 shown]
	v_mov_b32_e32 v211, v151
	v_lshlrev_b64_e32 v[88:89], 4, v[150:151]
	v_add_nc_u32_e32 v150, 50, v210
	s_clause 0x17
	global_store_b128 v[212:213], v[16:19], off
	global_store_b128 v[212:213], v[28:31], off offset:800
	global_store_b128 v[212:213], v[24:27], off offset:1600
	global_store_b128 v[156:157], v[36:39], off
	global_store_b128 v[194:195], v[84:87], off
	;; [unrolled: 1-line block ×21, first 2 shown]
	v_add_co_u32 v0, vcc_lo, v166, v184
	v_lshlrev_b64_e32 v[2:3], 4, v[210:211]
	v_lshlrev_b64_e32 v[6:7], 4, v[150:151]
	v_add_nc_u32_e32 v150, 0x64, v210
	s_wait_alu 0xfffd
	v_add_co_ci_u32_e32 v1, vcc_lo, v167, v185, vcc_lo
	v_add_co_u32 v4, vcc_lo, v166, v88
	s_wait_alu 0xfffd
	v_add_co_ci_u32_e32 v5, vcc_lo, v167, v89, vcc_lo
	v_add_co_u32 v2, vcc_lo, v166, v2
	v_lshlrev_b64_e32 v[8:9], 4, v[150:151]
	s_wait_alu 0xfffd
	v_add_co_ci_u32_e32 v3, vcc_lo, v167, v3, vcc_lo
	v_add_co_u32 v6, vcc_lo, v166, v6
	s_wait_alu 0xfffd
	v_add_co_ci_u32_e32 v7, vcc_lo, v167, v7, vcc_lo
	v_add_co_u32 v8, vcc_lo, v166, v8
	s_wait_alu 0xfffd
	v_add_co_ci_u32_e32 v9, vcc_lo, v167, v9, vcc_lo
	s_clause 0x5
	global_store_b128 v[54:55], v[116:119], off
	global_store_b128 v[0:1], v[132:135], off
	;; [unrolled: 1-line block ×6, first 2 shown]
.LBB0_14:
	s_nop 0
	s_sendmsg sendmsg(MSG_DEALLOC_VGPRS)
	s_endpgm
	.section	.rodata,"a",@progbits
	.p2align	6, 0x0
	.amdhsa_kernel fft_rtc_back_len150_factors_10_5_3_wgs_60_tpt_5_halfLds_dp_op_CI_CI_unitstride_sbrr_dirReg
		.amdhsa_group_segment_fixed_size 0
		.amdhsa_private_segment_fixed_size 0
		.amdhsa_kernarg_size 104
		.amdhsa_user_sgpr_count 2
		.amdhsa_user_sgpr_dispatch_ptr 0
		.amdhsa_user_sgpr_queue_ptr 0
		.amdhsa_user_sgpr_kernarg_segment_ptr 1
		.amdhsa_user_sgpr_dispatch_id 0
		.amdhsa_user_sgpr_private_segment_size 0
		.amdhsa_wavefront_size32 1
		.amdhsa_uses_dynamic_stack 0
		.amdhsa_enable_private_segment 0
		.amdhsa_system_sgpr_workgroup_id_x 1
		.amdhsa_system_sgpr_workgroup_id_y 0
		.amdhsa_system_sgpr_workgroup_id_z 0
		.amdhsa_system_sgpr_workgroup_info 0
		.amdhsa_system_vgpr_workitem_id 0
		.amdhsa_next_free_vgpr 236
		.amdhsa_next_free_sgpr 39
		.amdhsa_reserve_vcc 1
		.amdhsa_float_round_mode_32 0
		.amdhsa_float_round_mode_16_64 0
		.amdhsa_float_denorm_mode_32 3
		.amdhsa_float_denorm_mode_16_64 3
		.amdhsa_fp16_overflow 0
		.amdhsa_workgroup_processor_mode 1
		.amdhsa_memory_ordered 1
		.amdhsa_forward_progress 0
		.amdhsa_round_robin_scheduling 0
		.amdhsa_exception_fp_ieee_invalid_op 0
		.amdhsa_exception_fp_denorm_src 0
		.amdhsa_exception_fp_ieee_div_zero 0
		.amdhsa_exception_fp_ieee_overflow 0
		.amdhsa_exception_fp_ieee_underflow 0
		.amdhsa_exception_fp_ieee_inexact 0
		.amdhsa_exception_int_div_zero 0
	.end_amdhsa_kernel
	.text
.Lfunc_end0:
	.size	fft_rtc_back_len150_factors_10_5_3_wgs_60_tpt_5_halfLds_dp_op_CI_CI_unitstride_sbrr_dirReg, .Lfunc_end0-fft_rtc_back_len150_factors_10_5_3_wgs_60_tpt_5_halfLds_dp_op_CI_CI_unitstride_sbrr_dirReg
                                        ; -- End function
	.section	.AMDGPU.csdata,"",@progbits
; Kernel info:
; codeLenInByte = 13432
; NumSgprs: 41
; NumVgprs: 236
; ScratchSize: 0
; MemoryBound: 1
; FloatMode: 240
; IeeeMode: 1
; LDSByteSize: 0 bytes/workgroup (compile time only)
; SGPRBlocks: 5
; VGPRBlocks: 29
; NumSGPRsForWavesPerEU: 41
; NumVGPRsForWavesPerEU: 236
; Occupancy: 6
; WaveLimiterHint : 1
; COMPUTE_PGM_RSRC2:SCRATCH_EN: 0
; COMPUTE_PGM_RSRC2:USER_SGPR: 2
; COMPUTE_PGM_RSRC2:TRAP_HANDLER: 0
; COMPUTE_PGM_RSRC2:TGID_X_EN: 1
; COMPUTE_PGM_RSRC2:TGID_Y_EN: 0
; COMPUTE_PGM_RSRC2:TGID_Z_EN: 0
; COMPUTE_PGM_RSRC2:TIDIG_COMP_CNT: 0
	.text
	.p2alignl 7, 3214868480
	.fill 96, 4, 3214868480
	.type	__hip_cuid_a666a54985cc708,@object ; @__hip_cuid_a666a54985cc708
	.section	.bss,"aw",@nobits
	.globl	__hip_cuid_a666a54985cc708
__hip_cuid_a666a54985cc708:
	.byte	0                               ; 0x0
	.size	__hip_cuid_a666a54985cc708, 1

	.ident	"AMD clang version 19.0.0git (https://github.com/RadeonOpenCompute/llvm-project roc-6.4.0 25133 c7fe45cf4b819c5991fe208aaa96edf142730f1d)"
	.section	".note.GNU-stack","",@progbits
	.addrsig
	.addrsig_sym __hip_cuid_a666a54985cc708
	.amdgpu_metadata
---
amdhsa.kernels:
  - .args:
      - .actual_access:  read_only
        .address_space:  global
        .offset:         0
        .size:           8
        .value_kind:     global_buffer
      - .offset:         8
        .size:           8
        .value_kind:     by_value
      - .actual_access:  read_only
        .address_space:  global
        .offset:         16
        .size:           8
        .value_kind:     global_buffer
      - .actual_access:  read_only
        .address_space:  global
        .offset:         24
        .size:           8
        .value_kind:     global_buffer
      - .actual_access:  read_only
        .address_space:  global
        .offset:         32
        .size:           8
        .value_kind:     global_buffer
      - .offset:         40
        .size:           8
        .value_kind:     by_value
      - .actual_access:  read_only
        .address_space:  global
        .offset:         48
        .size:           8
        .value_kind:     global_buffer
      - .actual_access:  read_only
        .address_space:  global
        .offset:         56
        .size:           8
        .value_kind:     global_buffer
      - .offset:         64
        .size:           4
        .value_kind:     by_value
      - .actual_access:  read_only
        .address_space:  global
        .offset:         72
        .size:           8
        .value_kind:     global_buffer
      - .actual_access:  read_only
        .address_space:  global
        .offset:         80
        .size:           8
        .value_kind:     global_buffer
      - .actual_access:  read_only
        .address_space:  global
        .offset:         88
        .size:           8
        .value_kind:     global_buffer
      - .actual_access:  write_only
        .address_space:  global
        .offset:         96
        .size:           8
        .value_kind:     global_buffer
    .group_segment_fixed_size: 0
    .kernarg_segment_align: 8
    .kernarg_segment_size: 104
    .language:       OpenCL C
    .language_version:
      - 2
      - 0
    .max_flat_workgroup_size: 60
    .name:           fft_rtc_back_len150_factors_10_5_3_wgs_60_tpt_5_halfLds_dp_op_CI_CI_unitstride_sbrr_dirReg
    .private_segment_fixed_size: 0
    .sgpr_count:     41
    .sgpr_spill_count: 0
    .symbol:         fft_rtc_back_len150_factors_10_5_3_wgs_60_tpt_5_halfLds_dp_op_CI_CI_unitstride_sbrr_dirReg.kd
    .uniform_work_group_size: 1
    .uses_dynamic_stack: false
    .vgpr_count:     236
    .vgpr_spill_count: 0
    .wavefront_size: 32
    .workgroup_processor_mode: 1
amdhsa.target:   amdgcn-amd-amdhsa--gfx1201
amdhsa.version:
  - 1
  - 2
...

	.end_amdgpu_metadata
